;; amdgpu-corpus repo=ROCm/rocFFT kind=compiled arch=gfx1030 opt=O3
	.text
	.amdgcn_target "amdgcn-amd-amdhsa--gfx1030"
	.amdhsa_code_object_version 6
	.protected	fft_rtc_back_len289_factors_17_17_wgs_119_tpt_17_dp_op_CI_CI_sbrc_xy_z_diag_dirReg ; -- Begin function fft_rtc_back_len289_factors_17_17_wgs_119_tpt_17_dp_op_CI_CI_sbrc_xy_z_diag_dirReg
	.globl	fft_rtc_back_len289_factors_17_17_wgs_119_tpt_17_dp_op_CI_CI_sbrc_xy_z_diag_dirReg
	.p2align	8
	.type	fft_rtc_back_len289_factors_17_17_wgs_119_tpt_17_dp_op_CI_CI_sbrc_xy_z_diag_dirReg,@function
fft_rtc_back_len289_factors_17_17_wgs_119_tpt_17_dp_op_CI_CI_sbrc_xy_z_diag_dirReg: ; @fft_rtc_back_len289_factors_17_17_wgs_119_tpt_17_dp_op_CI_CI_sbrc_xy_z_diag_dirReg
; %bb.0:
	s_load_dwordx8 s[8:15], s[4:5], 0x0
	v_add_nc_u16 v5, v0, 0x77
	v_mov_b32_e32 v1, 0xe3
	v_mov_b32_e32 v2, 0x717
	v_add_nc_u16 v16, v0, 0x1dc
	v_add_nc_u16 v17, v0, 0x253
	v_and_b32_e32 v13, 0xffff, v5
	v_add_nc_u16 v21, v0, 0x42f
	v_add_nc_u16 v18, v0, 0x2ca
	;; [unrolled: 1-line block ×9, first 2 shown]
	v_mul_u32_u24_sdwa v8, v16, v1 dst_sel:DWORD dst_unused:UNUSED_PAD src0_sel:WORD_0 src1_sel:DWORD
	v_mul_u32_u24_sdwa v9, v17, v1 dst_sel:DWORD dst_unused:UNUSED_PAD src0_sel:WORD_0 src1_sel:DWORD
	v_mul_u32_u24_sdwa v12, v21, v2 dst_sel:DWORD dst_unused:UNUSED_PAD src0_sel:WORD_0 src1_sel:DWORD
	v_mul_u32_u24_sdwa v10, v18, v1 dst_sel:DWORD dst_unused:UNUSED_PAD src0_sel:WORD_0 src1_sel:DWORD
	s_waitcnt lgkmcnt(0)
	s_load_dwordx4 s[16:19], s[12:13], 0x8
	s_clause 0x1
	s_load_dwordx2 s[20:21], s[4:5], 0x20
	s_load_dwordx4 s[0:3], s[4:5], 0x58
	v_add_nc_u16 v22, v0, 0x4a6
	v_add_nc_u16 v27, v0, 0x6f9
	v_mul_u32_u24_sdwa v6, v3, v1 dst_sel:DWORD dst_unused:UNUSED_PAD src0_sel:WORD_0 src1_sel:DWORD
	v_mul_u32_u24_sdwa v7, v4, v1 dst_sel:DWORD dst_unused:UNUSED_PAD src0_sel:WORD_0 src1_sel:DWORD
	;; [unrolled: 1-line block ×4, first 2 shown]
	v_add_nc_u16 v23, v0, 0x51d
	v_add_nc_u16 v28, v0, 0x770
	v_mul_u32_u24_sdwa v29, v24, v2 dst_sel:DWORD dst_unused:UNUSED_PAD src0_sel:WORD_0 src1_sel:DWORD
	v_mul_u32_u24_sdwa v30, v25, v2 dst_sel:DWORD dst_unused:UNUSED_PAD src0_sel:WORD_0 src1_sel:DWORD
	;; [unrolled: 1-line block ×3, first 2 shown]
	v_lshrrev_b32_e32 v71, 16, v8
	v_lshrrev_b32_e32 v74, 16, v9
	;; [unrolled: 1-line block ×4, first 2 shown]
	v_mul_u32_u24_sdwa v14, v22, v2 dst_sel:DWORD dst_unused:UNUSED_PAD src0_sel:WORD_0 src1_sel:DWORD
	v_mul_u32_u24_sdwa v32, v27, v2 dst_sel:DWORD dst_unused:UNUSED_PAD src0_sel:WORD_0 src1_sel:DWORD
	v_lshrrev_b32_e32 v76, 16, v1
	s_waitcnt lgkmcnt(0)
	s_add_i32 s4, s18, -1
	v_lshrrev_b32_e32 v77, 19, v11
	s_mul_hi_u32 s5, s4, 0x24924925
	v_mul_u32_u24_sdwa v15, v23, v2 dst_sel:DWORD dst_unused:UNUSED_PAD src0_sel:WORD_0 src1_sel:DWORD
	s_sub_i32 s4, s4, s5
	v_mul_u32_u24_sdwa v2, v28, v2 dst_sel:DWORD dst_unused:UNUSED_PAD src0_sel:WORD_0 src1_sel:DWORD
	s_lshr_b32 s4, s4, 1
	v_lshrrev_b32_e32 v81, 19, v29
	s_add_i32 s4, s4, s5
	v_lshrrev_b32_e32 v82, 19, v30
	s_lshr_b32 s4, s4, 2
	v_lshrrev_b32_e32 v83, 19, v31
	s_add_i32 s4, s4, 1
	v_mul_lo_u16 v29, 0x121, v71
	s_mul_i32 s4, s4, s16
	v_mul_lo_u16 v30, 0x121, v74
	v_cvt_f32_u32_e32 v5, s4
	s_sub_i32 s7, 0, s4
	v_mul_lo_u16 v34, 0x121, v78
	v_mul_lo_u16 v31, 0x121, v75
	v_lshrrev_b32_e32 v79, 19, v14
	v_rcp_iflag_f32_e32 v5, v5
	v_lshrrev_b32_e32 v84, 19, v32
	v_mul_lo_u16 v32, 0x121, v76
	v_mul_lo_u16 v33, 0x121, v77
	v_lshrrev_b32_e32 v85, 19, v2
	v_mul_lo_u16 v39, 0x121, v83
	v_sub_nc_u16 v88, v16, v29
	v_sub_nc_u16 v89, v17, v30
	;; [unrolled: 1-line block ×4, first 2 shown]
	v_mul_f32_e32 v5, 0x4f7ffffe, v5
	v_lshrrev_b32_e32 v80, 19, v15
	v_mul_lo_u16 v35, 0x121, v79
	v_sub_nc_u16 v91, v19, v32
	v_mul_lo_u16 v37, 0x121, v81
	v_cvt_u32_f32_e32 v5, v5
	v_sub_nc_u16 v92, v20, v33
	v_mul_lo_u16 v40, 0x121, v84
	v_mul_lo_u16 v17, 0x121, v85
	v_sub_nc_u16 v98, v26, v39
	v_readfirstlane_b32 s5, v5
	v_and_b32_e32 v31, 0xffff, v88
	v_and_b32_e32 v33, 0xffff, v89
	;; [unrolled: 1-line block ×4, first 2 shown]
	s_mul_i32 s7, s7, s5
	v_mul_lo_u16 v36, 0x121, v80
	s_mul_hi_u32 s7, s5, s7
	v_sub_nc_u16 v94, v22, v35
	s_add_i32 s5, s5, s7
	v_and_b32_e32 v35, 0xffff, v91
	s_mul_hi_u32 s5, s6, s5
	v_mul_lo_u16 v38, 0x121, v82
	s_mul_i32 s7, s5, s4
	s_add_i32 s12, s5, 1
	s_sub_i32 s7, s6, s7
	v_sub_nc_u16 v96, v24, v37
	s_sub_i32 s16, s7, s4
	s_cmp_ge_u32 s7, s4
	v_and_b32_e32 v37, 0xffff, v92
	s_cselect_b32 s5, s12, s5
	s_cselect_b32 s7, s16, s7
	s_add_i32 s12, s5, 1
	s_cmp_ge_u32 s7, s4
	s_load_dwordx4 s[16:19], s[14:15], 0x0
	s_cselect_b32 s33, s12, s5
	v_sub_nc_u16 v99, v27, v40
	s_mul_i32 s5, s33, s4
	s_load_dword s4, s[14:15], 0x10
	s_sub_i32 s5, s6, s5
	v_sub_nc_u16 v100, v28, v17
	s_mul_hi_u32 s6, s5, 0xf0f0f0f1
	v_lshrrev_b32_e32 v69, 16, v6
	s_lshr_b32 s6, s6, 4
	v_sub_nc_u16 v95, v23, v36
	s_mul_i32 s7, s6, 17
	v_sub_nc_u16 v97, v25, v38
	s_sub_i32 s63, s5, s7
	v_lshrrev_b32_e32 v70, 16, v7
	s_add_i32 s6, s6, s63
	s_mul_i32 s63, s63, 7
	s_mul_hi_u32 s5, s6, 0xe2c4a689
	v_and_b32_e32 v41, 0xffff, v94
	s_lshr_b32 s5, s5, 8
	s_waitcnt lgkmcnt(0)
	v_mad_u64_u32 v[17:18], null, s16, v31, 0
	s_mulk_i32 s5, 0x121
	v_mad_u64_u32 v[19:20], null, s16, v33, 0
	s_sub_i32 s62, s6, s5
	s_mul_i32 s5, s63, s4
	s_mul_i32 s12, s62, s18
	s_lshl_b64 s[6:7], s[10:11], 3
	s_add_i32 s12, s12, s5
	s_add_u32 s10, s14, s6
	s_addc_u32 s11, s15, s7
	v_mad_u64_u32 v[27:28], null, s16, v39, 0
	s_load_dwordx2 s[14:15], s[10:11], 0x0
	v_mad_u64_u32 v[21:22], null, s16, v34, 0
	v_mad_u64_u32 v[23:24], null, s16, v35, 0
	;; [unrolled: 1-line block ×3, first 2 shown]
	v_mul_lo_u16 v1, 0x121, v69
	v_mad_u64_u32 v[31:32], null, s17, v31, v[18:19]
	v_mov_b32_e32 v18, v28
	v_and_b32_e32 v28, 0xffff, v95
	v_mad_u64_u32 v[32:33], null, s17, v33, v[20:21]
	v_mul_lo_u16 v2, 0x121, v70
	v_mad_u64_u32 v[33:34], null, s17, v34, v[22:23]
	v_mad_u64_u32 v[29:30], null, s16, v41, 0
	;; [unrolled: 1-line block ×3, first 2 shown]
	v_sub_nc_u16 v86, v3, v1
	s_waitcnt lgkmcnt(0)
	s_mul_i32 s5, s15, s33
	s_mul_hi_u32 s10, s14, s33
	v_mad_u64_u32 v[35:36], null, s16, v28, 0
	s_add_i32 s15, s10, s5
	v_sub_nc_u16 v87, v4, v2
	s_add_u32 s6, s20, s6
	s_addc_u32 s7, s21, s7
	v_and_b32_e32 v14, 0xffff, v86
	s_load_dwordx2 s[10:11], s[6:7], 0x0
	v_mad_u64_u32 v[1:2], null, s16, v0, 0
	v_mad_u64_u32 v[3:4], null, s16, v13, 0
	v_mov_b32_e32 v20, v30
	v_and_b32_e32 v15, 0xffff, v87
	v_mov_b32_e32 v22, v36
	v_and_b32_e32 v36, 0xffff, v97
	v_mad_u64_u32 v[5:6], null, s16, v14, 0
	v_mul_lo_u32 v72, s4, v69
	v_mad_u64_u32 v[41:42], null, s17, v41, v[20:21]
	v_mov_b32_e32 v73, 0
	v_mad_u64_u32 v[7:8], null, s16, v15, 0
	v_and_b32_e32 v30, 0xffff, v96
	v_mad_u64_u32 v[42:43], null, s17, v28, v[22:23]
	v_mad_u64_u32 v[43:44], null, s16, v36, 0
	;; [unrolled: 1-line block ×5, first 2 shown]
	v_lshlrev_b64 v[9:10], 4, v[72:73]
	v_mad_u64_u32 v[12:13], null, s17, v13, v[4:5]
	v_mad_u64_u32 v[39:40], null, s16, v30, 0
	;; [unrolled: 1-line block ×3, first 2 shown]
	v_mov_b32_e32 v28, v44
	v_and_b32_e32 v44, 0xffff, v99
	v_mov_b32_e32 v2, v11
	v_mad_u64_u32 v[14:15], null, s17, v15, v[8:9]
	s_mul_i32 s14, s14, s33
	v_mov_b32_e32 v4, v12
	s_waitcnt lgkmcnt(0)
	s_mul_i32 s5, s11, s33
	s_mul_hi_u32 s11, s10, s33
	v_mov_b32_e32 v24, v40
	s_lshl_b64 s[6:7], s[14:15], 4
	v_and_b32_e32 v40, 0xffff, v98
	v_and_b32_e32 v50, 0xffff, v100
	v_mad_u64_u32 v[45:46], null, s16, v44, 0
	s_mov_b32 s13, 0
	v_lshlrev_b64 v[1:2], 4, v[1:2]
	s_add_i32 s11, s11, s5
	v_mov_b32_e32 v6, v13
	s_add_u32 s5, s0, s6
	v_mul_lo_u32 v72, s4, v70
	s_addc_u32 s6, s1, s7
	s_lshl_b64 s[0:1], s[12:13], 4
	v_lshlrev_b64 v[3:4], 4, v[3:4]
	v_mov_b32_e32 v18, v31
	v_mov_b32_e32 v20, v32
	v_mad_u64_u32 v[31:32], null, s17, v30, v[24:25]
	v_mad_u64_u32 v[47:48], null, s17, v36, v[28:29]
	v_mov_b32_e32 v8, v14
	s_add_u32 s0, s5, s0
	v_mov_b32_e32 v22, v33
	v_mad_u64_u32 v[32:33], null, s16, v40, 0
	v_mad_u64_u32 v[48:49], null, s16, v50, 0
	v_lshlrev_b64 v[5:6], 4, v[5:6]
	s_addc_u32 s1, s6, s1
	v_add_co_u32 v1, vcc_lo, s0, v1
	v_mov_b32_e32 v24, v34
	v_mov_b32_e32 v34, v46
	v_add_co_ci_u32_e32 v2, vcc_lo, s1, v2, vcc_lo
	v_lshlrev_b64 v[7:8], 4, v[7:8]
	v_add_co_u32 v13, vcc_lo, s0, v3
	v_lshlrev_b64 v[11:12], 4, v[72:73]
	v_mul_lo_u32 v72, s4, v71
	v_add_co_ci_u32_e32 v14, vcc_lo, s1, v4, vcc_lo
	v_add_co_u32 v3, vcc_lo, s0, v5
	v_mov_b32_e32 v26, v37
	v_mov_b32_e32 v28, v38
	v_mad_u64_u32 v[37:38], null, s17, v40, v[33:34]
	v_mov_b32_e32 v33, v49
	v_add_co_ci_u32_e32 v4, vcc_lo, s1, v6, vcc_lo
	v_add_co_u32 v5, vcc_lo, s0, v7
	v_add_co_ci_u32_e32 v6, vcc_lo, s1, v8, vcc_lo
	v_mad_u64_u32 v[49:50], null, s17, v50, v[33:34]
	v_add_co_u32 v9, vcc_lo, v3, v9
	v_lshlrev_b64 v[50:51], 4, v[72:73]
	v_mul_lo_u32 v72, s4, v74
	v_lshlrev_b64 v[17:18], 4, v[17:18]
	v_add_co_ci_u32_e32 v10, vcc_lo, v4, v10, vcc_lo
	v_add_co_u32 v15, vcc_lo, v5, v11
	v_add_co_ci_u32_e32 v16, vcc_lo, v6, v12, vcc_lo
	v_mov_b32_e32 v40, v31
	v_add_co_u32 v31, vcc_lo, s0, v17
	v_mov_b32_e32 v30, v41
	v_mov_b32_e32 v36, v42
	v_mad_u64_u32 v[41:42], null, s17, v44, v[34:35]
	v_mov_b32_e32 v33, v37
	v_lshlrev_b64 v[19:20], 4, v[19:20]
	v_lshlrev_b64 v[37:38], 4, v[72:73]
	v_mul_lo_u32 v72, s4, v75
	v_add_co_ci_u32_e32 v34, vcc_lo, s1, v18, vcc_lo
	v_lshlrev_b64 v[17:18], 4, v[21:22]
	v_add_co_u32 v21, vcc_lo, v31, v50
	v_add_co_ci_u32_e32 v22, vcc_lo, v34, v51, vcc_lo
	v_add_co_u32 v31, vcc_lo, s0, v19
	v_mov_b32_e32 v46, v41
	v_lshlrev_b64 v[41:42], 4, v[72:73]
	v_mul_lo_u32 v72, s4, v76
	v_add_co_ci_u32_e32 v34, vcc_lo, s1, v20, vcc_lo
	v_lshlrev_b64 v[19:20], 4, v[23:24]
	v_add_co_u32 v23, vcc_lo, v31, v37
	v_add_co_ci_u32_e32 v24, vcc_lo, v34, v38, vcc_lo
	v_add_co_u32 v31, vcc_lo, s0, v17
	v_lshlrev_b64 v[37:38], 4, v[72:73]
	v_mul_lo_u32 v72, s4, v77
	v_add_co_ci_u32_e32 v34, vcc_lo, s1, v18, vcc_lo
	v_lshlrev_b64 v[17:18], 4, v[25:26]
	v_add_co_u32 v25, vcc_lo, v31, v41
	v_add_co_ci_u32_e32 v26, vcc_lo, v34, v42, vcc_lo
	v_add_co_u32 v31, vcc_lo, s0, v19
	v_lshlrev_b64 v[41:42], 4, v[72:73]
	v_mul_lo_u32 v72, s4, v78
	v_add_co_ci_u32_e32 v34, vcc_lo, s1, v20, vcc_lo
	v_add_co_u32 v37, vcc_lo, v31, v37
	v_lshlrev_b64 v[19:20], 4, v[27:28]
	v_add_co_ci_u32_e32 v38, vcc_lo, v34, v38, vcc_lo
	v_add_co_u32 v31, vcc_lo, s0, v17
	v_lshlrev_b64 v[27:28], 4, v[72:73]
	v_mul_lo_u32 v72, s4, v79
	v_add_co_ci_u32_e32 v34, vcc_lo, s1, v18, vcc_lo
	v_add_co_u32 v41, vcc_lo, v31, v41
	v_lshlrev_b64 v[17:18], 4, v[29:30]
	;; [unrolled: 7-line block ×4, first 2 shown]
	v_add_co_ci_u32_e32 v53, vcc_lo, v34, v30, vcc_lo
	v_add_co_u32 v31, vcc_lo, s0, v19
	v_lshlrev_b64 v[29:30], 4, v[72:73]
	v_mul_lo_u32 v72, s4, v82
	v_add_co_ci_u32_e32 v34, vcc_lo, s1, v20, vcc_lo
	v_mov_b32_e32 v44, v47
	v_add_co_u32 v54, vcc_lo, v31, v27
	v_add_co_ci_u32_e32 v55, vcc_lo, v34, v28, vcc_lo
	v_add_co_u32 v31, vcc_lo, s0, v17
	v_lshlrev_b64 v[19:20], 4, v[43:44]
	v_lshlrev_b64 v[27:28], 4, v[72:73]
	v_mul_lo_u32 v72, s4, v83
	v_add_co_ci_u32_e32 v34, vcc_lo, s1, v18, vcc_lo
	v_add_co_u32 v56, vcc_lo, v31, v29
	v_lshlrev_b64 v[17:18], 4, v[32:33]
	v_add_co_ci_u32_e32 v57, vcc_lo, v34, v30, vcc_lo
	v_add_co_u32 v31, vcc_lo, s0, v19
	v_lshlrev_b64 v[29:30], 4, v[72:73]
	v_mul_lo_u32 v72, s4, v84
	v_add_co_ci_u32_e32 v32, vcc_lo, s1, v20, vcc_lo
	v_add_co_u32 v58, vcc_lo, v31, v27
	v_lshlrev_b64 v[19:20], 4, v[45:46]
	v_add_co_ci_u32_e32 v59, vcc_lo, v32, v28, vcc_lo
	v_add_co_u32 v17, vcc_lo, s0, v17
	v_lshlrev_b64 v[60:61], 4, v[72:73]
	v_mul_lo_u32 v72, s4, v85
	v_add_co_ci_u32_e32 v18, vcc_lo, s1, v18, vcc_lo
	v_lshlrev_b64 v[62:63], 4, v[48:49]
	v_add_co_u32 v64, vcc_lo, v17, v29
	v_add_co_ci_u32_e32 v65, vcc_lo, v18, v30, vcc_lo
	v_add_co_u32 v68, vcc_lo, s0, v19
	v_lshlrev_b64 v[66:67], 4, v[72:73]
	v_add_co_ci_u32_e32 v72, vcc_lo, s1, v20, vcc_lo
	s_clause 0xb
	global_load_dwordx4 v[1:4], v[1:2], off
	global_load_dwordx4 v[5:8], v[13:14], off
	;; [unrolled: 1-line block ×12, first 2 shown]
	v_add_co_u32 v53, vcc_lo, s0, v62
	v_add_co_ci_u32_e32 v54, vcc_lo, s1, v63, vcc_lo
	v_add_co_u32 v62, vcc_lo, v68, v60
	v_add_co_ci_u32_e32 v63, vcc_lo, v72, v61, vcc_lo
	;; [unrolled: 2-line block ×3, first 2 shown]
	s_clause 0x4
	global_load_dwordx4 v[49:52], v[56:57], off
	global_load_dwordx4 v[53:56], v[58:59], off
	;; [unrolled: 1-line block ×5, first 2 shown]
	v_mul_u32_u24_e32 v72, 0x2493, v0
	v_mad_u16 v101, v0, 7, 0x341
	v_mad_u16 v69, v86, 7, v69
	;; [unrolled: 1-line block ×4, first 2 shown]
	v_lshrrev_b32_e32 v122, 16, v72
	v_mul_lo_u16 v72, v0, 7
	v_mad_u16 v74, v89, 7, v74
	v_mad_u16 v75, v90, 7, v75
	;; [unrolled: 1-line block ×3, first 2 shown]
	v_mul_lo_u16 v102, v122, 7
	v_and_b32_e32 v72, 0xffff, v72
	v_mad_u16 v77, v92, 7, v77
	v_mad_u16 v78, v93, 7, v78
	;; [unrolled: 1-line block ×3, first 2 shown]
	v_sub_nc_u16 v102, v0, v102
	v_mad_u16 v80, v95, 7, v80
	v_and_b32_e32 v101, 0xffff, v101
	v_and_b32_e32 v69, 0xffff, v69
	;; [unrolled: 1-line block ×4, first 2 shown]
	v_lshl_add_u32 v72, v72, 4, 0
	v_and_b32_e32 v120, 0xffff, v102
	v_mad_u16 v81, v96, 7, v81
	v_mad_u16 v82, v97, 7, v82
	;; [unrolled: 1-line block ×3, first 2 shown]
	v_and_b32_e32 v74, 0xffff, v74
	v_and_b32_e32 v75, 0xffff, v75
	;; [unrolled: 1-line block ×7, first 2 shown]
	v_lshl_add_u32 v101, v101, 4, 0
	v_mad_u16 v83, v98, 7, v83
	v_mad_u16 v84, v99, 7, v84
	v_lshl_add_u32 v69, v69, 4, 0
	v_lshl_add_u32 v70, v70, 4, 0
	s_load_dwordx4 s[4:7], s[20:21], 0x0
	v_lshl_add_u32 v71, v71, 4, 0
	s_waitcnt lgkmcnt(0)
	s_load_dword s7, s[20:21], 0x10
	v_and_b32_e32 v81, 0xffff, v81
	v_and_b32_e32 v82, 0xffff, v82
	v_lshl_add_u32 v74, v74, 4, 0
	v_lshl_add_u32 v75, v75, 4, 0
	;; [unrolled: 1-line block ×7, first 2 shown]
	v_lshlrev_b32_e32 v123, 4, v120
	v_lshl_add_u32 v81, v81, 4, 0
	s_mov_b32 s44, 0x5d8e7cdc
	s_mov_b32 s46, 0x370991
	;; [unrolled: 1-line block ×48, first 2 shown]
	v_mul_u32_u24_e32 v0, 0x227, v0
	s_mul_i32 s10, s10, s33
	s_waitcnt lgkmcnt(0)
	s_mul_i32 s12, s62, s7
	s_waitcnt vmcnt(16)
	ds_write_b128 v72, v[1:4]
	s_waitcnt vmcnt(15)
	ds_write_b128 v101, v[5:8]
	;; [unrolled: 2-line block ×12, first 2 shown]
	v_and_b32_e32 v4, 0xffff, v85
	v_mul_u32_u24_e32 v5, 0x70, v122
	v_and_b32_e32 v1, 0xffff, v83
	v_and_b32_e32 v2, 0xffff, v84
	v_lshl_add_u32 v3, v82, 4, 0
	v_lshl_add_u32 v4, v4, 4, 0
	v_add3_u32 v121, 0, v5, v123
	v_lshl_add_u32 v1, v1, 4, 0
	v_lshl_add_u32 v2, v2, 4, 0
	v_lshrrev_b32_e32 v0, 16, v0
	s_waitcnt vmcnt(4)
	ds_write_b128 v81, v[49:52]
	s_waitcnt vmcnt(3)
	ds_write_b128 v3, v[53:56]
	;; [unrolled: 2-line block ×5, first 2 shown]
	s_waitcnt lgkmcnt(0)
	s_barrier
	buffer_gl0_inv
	ds_read_b128 v[1:4], v121
	ds_read_b128 v[5:8], v121 offset:1904
	ds_read_b128 v[9:12], v121 offset:3808
	;; [unrolled: 1-line block ×3, first 2 shown]
	v_mul_lo_u16 v0, 0x121, v0
	s_waitcnt lgkmcnt(2)
	v_add_f64 v[17:18], v[1:2], v[5:6]
	v_add_f64 v[19:20], v[3:4], v[7:8]
	s_waitcnt lgkmcnt(1)
	v_add_f64 v[17:18], v[17:18], v[9:10]
	v_add_f64 v[19:20], v[19:20], v[11:12]
	;; [unrolled: 3-line block ×3, first 2 shown]
	ds_read_b128 v[17:20], v121 offset:7616
	ds_read_b128 v[21:24], v121 offset:9520
	;; [unrolled: 1-line block ×8, first 2 shown]
	s_waitcnt lgkmcnt(7)
	v_add_f64 v[25:26], v[25:26], v[17:18]
	v_add_f64 v[27:28], v[27:28], v[19:20]
	s_waitcnt lgkmcnt(2)
	v_add_f64 v[33:34], v[76:77], v[90:91]
	v_add_f64 v[37:38], v[78:79], v[92:93]
	v_add_f64 v[43:44], v[78:79], -v[92:93]
	s_waitcnt lgkmcnt(1)
	v_add_f64 v[41:42], v[49:50], v[94:95]
	s_waitcnt lgkmcnt(0)
	v_add_f64 v[45:46], v[55:56], v[98:99]
	v_add_f64 v[53:54], v[57:58], v[100:101]
	v_add_f64 v[59:60], v[57:58], -v[100:101]
	v_add_f64 v[47:48], v[51:52], v[96:97]
	v_add_f64 v[25:26], v[25:26], v[21:22]
	;; [unrolled: 1-line block ×3, first 2 shown]
	v_mul_f64 v[156:157], v[53:54], s[48:49]
	v_mul_f64 v[154:155], v[59:60], s[42:43]
	v_add_f64 v[35:36], v[25:26], v[55:56]
	v_add_f64 v[39:40], v[27:28], v[57:58]
	ds_read_b128 v[25:28], v121 offset:30464
	ds_read_b128 v[102:105], v121 offset:22848
	;; [unrolled: 1-line block ×5, first 2 shown]
	s_waitcnt lgkmcnt(0)
	s_barrier
	buffer_gl0_inv
	v_add_f64 v[57:58], v[21:22], v[102:103]
	v_add_f64 v[63:64], v[17:18], v[124:125]
	;; [unrolled: 1-line block ×4, first 2 shown]
	v_add_f64 v[106:107], v[7:8], -v[27:28]
	v_add_f64 v[7:8], v[7:8], v[27:28]
	v_add_f64 v[35:36], v[76:77], -v[90:91]
	v_add_f64 v[69:70], v[19:20], v[126:127]
	v_add_f64 v[61:62], v[17:18], -v[124:125]
	v_add_f64 v[74:75], v[19:20], -v[126:127]
	;; [unrolled: 1-line block ×3, first 2 shown]
	v_add_f64 v[86:87], v[11:12], v[31:32]
	v_add_f64 v[88:89], v[11:12], -v[31:32]
	v_add_f64 v[11:12], v[5:6], v[25:26]
	v_add_f64 v[5:6], v[5:6], -v[25:26]
	v_add_f64 v[82:83], v[9:10], -v[29:30]
	;; [unrolled: 1-line block ×4, first 2 shown]
	v_add_f64 v[65:66], v[23:24], v[104:105]
	v_add_f64 v[55:56], v[21:22], -v[102:103]
	v_add_f64 v[67:68], v[23:24], -v[104:105]
	;; [unrolled: 1-line block ×3, first 2 shown]
	v_add_f64 v[17:18], v[71:72], v[76:77]
	v_add_f64 v[19:20], v[80:81], v[78:79]
	;; [unrolled: 1-line block ×4, first 2 shown]
	v_add_f64 v[71:72], v[13:14], -v[128:129]
	v_mul_f64 v[13:14], v[106:107], s[44:45]
	v_mul_f64 v[15:16], v[7:8], s[46:47]
	v_add_f64 v[80:81], v[9:10], v[29:30]
	v_mul_f64 v[9:10], v[106:107], s[26:27]
	v_mul_f64 v[136:137], v[86:87], s[24:25]
	;; [unrolled: 1-line block ×14, first 2 shown]
	v_add_f64 v[17:18], v[17:18], v[90:91]
	v_add_f64 v[19:20], v[19:20], v[92:93]
	v_mul_f64 v[90:91], v[7:8], s[18:19]
	v_mul_f64 v[144:145], v[78:79], s[18:19]
	;; [unrolled: 1-line block ×3, first 2 shown]
	v_fma_f64 v[138:139], v[11:12], s[46:47], v[13:14]
	v_fma_f64 v[142:143], v[5:6], s[54:55], v[15:16]
	v_fma_f64 v[13:14], v[11:12], s[46:47], -v[13:14]
	v_mul_f64 v[7:8], v[7:8], s[38:39]
	v_fma_f64 v[170:171], v[82:83], s[40:41], v[136:137]
	v_fma_f64 v[168:169], v[80:81], s[24:25], v[134:135]
	v_mul_f64 v[146:147], v[74:75], s[14:15]
	v_mul_f64 v[148:149], v[69:70], s[0:1]
	v_fma_f64 v[15:16], v[5:6], s[44:45], v[15:16]
	v_fma_f64 v[172:173], v[11:12], s[0:1], v[23:24]
	v_fma_f64 v[23:24], v[11:12], s[0:1], -v[23:24]
	v_fma_f64 v[174:175], v[11:12], s[22:23], v[108:109]
	v_fma_f64 v[108:109], v[11:12], s[22:23], -v[108:109]
	;; [unrolled: 2-line block ×3, first 2 shown]
	v_fma_f64 v[180:181], v[11:12], s[58:59], v[112:113]
	v_fma_f64 v[182:183], v[11:12], s[38:39], v[106:107]
	v_add_f64 v[17:18], v[17:18], v[94:95]
	v_add_f64 v[19:20], v[19:20], v[96:97]
	v_fma_f64 v[94:95], v[11:12], s[24:25], v[9:10]
	v_fma_f64 v[9:10], v[11:12], s[24:25], -v[9:10]
	v_fma_f64 v[96:97], v[11:12], s[18:19], v[21:22]
	v_add_f64 v[138:139], v[1:2], v[138:139]
	v_add_f64 v[142:143], v[3:4], v[142:143]
	v_fma_f64 v[21:22], v[11:12], s[18:19], -v[21:22]
	v_fma_f64 v[110:111], v[5:6], s[26:27], v[114:115]
	v_add_f64 v[13:14], v[1:2], v[13:14]
	v_mul_f64 v[150:151], v[67:68], s[16:17]
	v_mul_f64 v[152:153], v[65:66], s[22:23]
	;; [unrolled: 1-line block ×4, first 2 shown]
	v_fma_f64 v[136:137], v[82:83], s[26:27], v[136:137]
	v_fma_f64 v[184:185], v[5:6], s[16:17], v[116:117]
	v_fma_f64 v[186:187], v[5:6], s[56:57], v[118:119]
	v_fma_f64 v[188:189], v[5:6], s[42:43], v[118:119]
	v_fma_f64 v[190:191], v[5:6], s[50:51], v[7:8]
	v_fma_f64 v[192:193], v[61:62], s[28:29], v[148:149]
	v_add_f64 v[15:16], v[3:4], v[15:16]
	v_mul_f64 v[164:165], v[84:85], s[42:43]
	v_add_f64 v[17:18], v[17:18], v[98:99]
	v_add_f64 v[19:20], v[19:20], v[100:101]
	v_fma_f64 v[98:99], v[11:12], s[58:59], -v[112:113]
	v_fma_f64 v[11:12], v[11:12], s[38:39], -v[106:107]
	v_fma_f64 v[100:101], v[5:6], s[40:41], v[114:115]
	v_fma_f64 v[106:107], v[80:81], s[24:25], -v[134:135]
	v_fma_f64 v[112:113], v[76:77], s[18:19], v[140:141]
	v_add_f64 v[114:115], v[168:169], v[138:139]
	v_fma_f64 v[134:135], v[71:72], s[36:37], v[144:145]
	v_add_f64 v[138:139], v[170:171], v[142:143]
	v_fma_f64 v[142:143], v[5:6], s[36:37], v[90:91]
	v_fma_f64 v[90:91], v[5:6], s[20:21], v[90:91]
	;; [unrolled: 1-line block ×5, first 2 shown]
	v_fma_f64 v[140:141], v[76:77], s[18:19], -v[140:141]
	v_mul_f64 v[166:167], v[78:79], s[48:49]
	v_fma_f64 v[196:197], v[80:81], s[0:1], v[160:161]
	v_fma_f64 v[160:161], v[80:81], s[0:1], -v[160:161]
	v_add_f64 v[198:199], v[1:2], v[94:95]
	v_add_f64 v[9:10], v[1:2], v[9:10]
	;; [unrolled: 1-line block ×5, first 2 shown]
	v_fma_f64 v[104:105], v[5:6], s[60:61], v[132:133]
	v_fma_f64 v[132:133], v[5:6], s[52:53], v[132:133]
	;; [unrolled: 1-line block ×4, first 2 shown]
	v_add_f64 v[13:14], v[106:107], v[13:14]
	v_add_f64 v[194:195], v[112:113], v[114:115]
	;; [unrolled: 1-line block ×4, first 2 shown]
	v_fma_f64 v[138:139], v[82:83], s[28:29], v[162:163]
	v_add_f64 v[142:143], v[3:4], v[142:143]
	v_add_f64 v[206:207], v[3:4], v[90:91]
	;; [unrolled: 1-line block ×12, first 2 shown]
	v_fma_f64 v[11:12], v[57:58], s[22:23], v[150:151]
	v_add_f64 v[104:105], v[3:4], v[104:105]
	v_add_f64 v[98:99], v[3:4], v[132:133]
	;; [unrolled: 1-line block ×3, first 2 shown]
	v_fma_f64 v[3:4], v[71:72], s[20:21], v[144:145]
	v_add_f64 v[5:6], v[136:137], v[15:16]
	v_add_f64 v[7:8], v[7:8], v[194:195]
	v_fma_f64 v[15:16], v[55:56], s[34:35], v[152:153]
	v_add_f64 v[132:133], v[192:193], v[134:135]
	v_add_f64 v[204:205], v[1:2], v[96:97]
	;; [unrolled: 1-line block ×10, first 2 shown]
	v_mul_f64 v[1:2], v[88:89], s[42:43]
	v_fma_f64 v[136:137], v[82:83], s[14:15], v[162:163]
	v_add_f64 v[13:14], v[140:141], v[13:14]
	v_fma_f64 v[146:147], v[63:64], s[0:1], -v[146:147]
	v_mul_f64 v[158:159], v[51:52], s[52:53]
	v_mul_f64 v[134:135], v[47:48], s[58:59]
	;; [unrolled: 1-line block ×3, first 2 shown]
	v_add_f64 v[162:163], v[196:197], v[198:199]
	v_fma_f64 v[170:171], v[76:77], s[48:49], v[164:165]
	v_add_f64 v[17:18], v[17:18], v[124:125]
	v_add_f64 v[19:20], v[19:20], v[126:127]
	v_mul_f64 v[124:125], v[69:70], s[38:39]
	v_mul_f64 v[126:127], v[86:87], s[48:49]
	v_add_f64 v[138:139], v[138:139], v[200:201]
	v_fma_f64 v[174:175], v[71:72], s[56:57], v[166:167]
	v_add_f64 v[9:10], v[160:161], v[9:10]
	v_fma_f64 v[148:149], v[61:62], s[14:15], v[148:149]
	;; [unrolled: 2-line block ×4, first 2 shown]
	v_add_f64 v[15:16], v[15:16], v[132:133]
	v_fma_f64 v[164:165], v[76:77], s[48:49], -v[164:165]
	v_mul_f64 v[160:161], v[84:85], s[50:51]
	v_fma_f64 v[132:133], v[80:81], s[48:49], v[1:2]
	v_add_f64 v[136:137], v[136:137], v[202:203]
	v_fma_f64 v[166:167], v[71:72], s[42:43], v[166:167]
	v_add_f64 v[13:14], v[146:147], v[13:14]
	v_fma_f64 v[150:151], v[57:58], s[22:23], -v[150:151]
	v_mul_f64 v[140:141], v[43:44], s[30:31]
	v_mul_f64 v[176:177], v[37:38], s[38:39]
	v_add_f64 v[162:163], v[170:171], v[162:163]
	v_fma_f64 v[170:171], v[63:64], s[38:39], v[144:145]
	v_mul_f64 v[146:147], v[67:68], s[60:61]
	v_add_f64 v[17:18], v[17:18], v[128:129]
	v_add_f64 v[19:20], v[19:20], v[130:131]
	v_mul_f64 v[128:129], v[65:66], s[58:59]
	v_mul_f64 v[130:131], v[78:79], s[38:39]
	v_add_f64 v[138:139], v[174:175], v[138:139]
	v_fma_f64 v[174:175], v[61:62], s[50:51], v[124:125]
	v_fma_f64 v[152:153], v[55:56], s[16:17], v[152:153]
	v_add_f64 v[3:4], v[148:149], v[3:4]
	v_fma_f64 v[148:149], v[41:42], s[58:59], v[158:159]
	v_add_f64 v[5:6], v[5:6], v[7:8]
	v_fma_f64 v[7:8], v[39:40], s[60:61], v[134:135]
	v_add_f64 v[11:12], v[11:12], v[15:16]
	v_add_f64 v[9:10], v[164:165], v[9:10]
	v_fma_f64 v[164:165], v[82:83], s[56:57], v[126:127]
	v_add_f64 v[132:133], v[132:133], v[204:205]
	v_add_f64 v[136:137], v[166:167], v[136:137]
	v_mul_f64 v[166:167], v[74:75], s[34:35]
	v_add_f64 v[13:14], v[150:151], v[13:14]
	v_fma_f64 v[150:151], v[76:77], s[38:39], v[160:161]
	v_fma_f64 v[154:155], v[45:46], s[48:49], -v[154:155]
	v_fma_f64 v[144:145], v[63:64], s[38:39], -v[144:145]
	v_fma_f64 v[124:125], v[61:62], s[30:31], v[124:125]
	v_mul_f64 v[15:16], v[59:60], s[34:35]
	v_mul_f64 v[178:179], v[53:54], s[22:23]
	v_add_f64 v[162:163], v[170:171], v[162:163]
	v_mul_f64 v[170:171], v[69:70], s[22:23]
	v_fma_f64 v[156:157], v[49:50], s[42:43], v[156:157]
	v_add_f64 v[138:139], v[174:175], v[138:139]
	v_fma_f64 v[174:175], v[33:34], s[38:39], v[140:141]
	v_add_f64 v[3:4], v[152:153], v[3:4]
	;; [unrolled: 2-line block ×5, first 2 shown]
	v_add_f64 v[19:20], v[19:20], v[31:32]
	v_fma_f64 v[31:32], v[71:72], s[30:31], v[130:131]
	v_add_f64 v[142:143], v[164:165], v[142:143]
	v_fma_f64 v[164:165], v[80:81], s[48:49], -v[1:2]
	v_fma_f64 v[126:127], v[82:83], s[42:43], v[126:127]
	v_mul_f64 v[29:30], v[67:68], s[40:41]
	v_fma_f64 v[158:159], v[41:42], s[58:59], -v[158:159]
	v_fma_f64 v[180:181], v[63:64], s[22:23], v[166:167]
	v_add_f64 v[13:14], v[154:155], v[13:14]
	v_add_f64 v[132:133], v[150:151], v[132:133]
	v_fma_f64 v[146:147], v[57:58], s[58:59], -v[146:147]
	v_fma_f64 v[128:129], v[55:56], s[60:61], v[128:129]
	v_add_f64 v[9:10], v[144:145], v[9:10]
	v_add_f64 v[124:125], v[124:125], v[136:137]
	v_fma_f64 v[134:135], v[39:40], s[52:53], v[134:135]
	v_fma_f64 v[154:155], v[45:46], s[22:23], v[15:16]
	;; [unrolled: 1-line block ×3, first 2 shown]
	v_add_f64 v[156:157], v[156:157], v[3:4]
	v_add_f64 v[136:137], v[152:153], v[162:163]
	;; [unrolled: 1-line block ×7, first 2 shown]
	v_mul_f64 v[11:12], v[51:52], s[36:37]
	v_add_f64 v[17:18], v[31:32], v[142:143]
	v_fma_f64 v[19:20], v[61:62], s[16:17], v[170:171]
	v_mul_f64 v[25:26], v[65:66], s[24:25]
	v_add_f64 v[21:22], v[164:165], v[21:22]
	v_fma_f64 v[27:28], v[76:77], s[38:39], -v[160:161]
	v_add_f64 v[31:32], v[126:127], v[206:207]
	v_fma_f64 v[126:127], v[71:72], s[50:51], v[130:131]
	v_add_f64 v[13:14], v[158:159], v[13:14]
	v_mul_f64 v[130:131], v[47:48], s[18:19]
	v_add_f64 v[132:133], v[180:181], v[132:133]
	v_fma_f64 v[142:143], v[57:58], s[24:25], v[29:30]
	v_mul_f64 v[144:145], v[59:60], s[44:45]
	v_add_f64 v[9:10], v[146:147], v[9:10]
	v_add_f64 v[124:125], v[128:129], v[124:125]
	v_fma_f64 v[15:16], v[45:46], s[22:23], -v[15:16]
	v_fma_f64 v[128:129], v[49:50], s[34:35], v[178:179]
	v_fma_f64 v[140:141], v[33:34], s[38:39], -v[140:141]
	v_mul_f64 v[148:149], v[88:89], s[30:31]
	v_add_f64 v[134:135], v[134:135], v[156:157]
	v_fma_f64 v[146:147], v[35:36], s[30:31], v[176:177]
	v_add_f64 v[136:137], v[154:155], v[136:137]
	v_add_f64 v[138:139], v[150:151], v[138:139]
	v_fma_f64 v[150:151], v[41:42], s[18:19], v[11:12]
	v_add_f64 v[17:18], v[19:20], v[17:18]
	v_fma_f64 v[19:20], v[55:56], s[26:27], v[25:26]
	v_mul_f64 v[152:153], v[53:54], s[46:47]
	v_add_f64 v[21:22], v[27:28], v[21:22]
	v_fma_f64 v[27:28], v[63:64], s[22:23], -v[166:167]
	v_add_f64 v[31:32], v[126:127], v[31:32]
	v_fma_f64 v[126:127], v[61:62], s[34:35], v[170:171]
	v_fma_f64 v[154:155], v[39:40], s[20:21], v[130:131]
	v_mul_f64 v[156:157], v[43:44], s[54:55]
	v_add_f64 v[132:133], v[142:143], v[132:133]
	v_fma_f64 v[142:143], v[45:46], s[46:47], v[144:145]
	v_mul_f64 v[158:159], v[51:52], s[14:15]
	v_mul_f64 v[160:161], v[86:87], s[38:39]
	v_mul_f64 v[162:163], v[37:38], s[46:47]
	v_add_f64 v[15:16], v[15:16], v[9:10]
	v_add_f64 v[124:125], v[128:129], v[124:125]
	v_fma_f64 v[128:129], v[41:42], s[18:19], -v[11:12]
	v_fma_f64 v[130:131], v[39:40], s[36:37], v[130:131]
	v_add_f64 v[9:10], v[140:141], v[13:14]
	v_fma_f64 v[13:14], v[80:81], s[38:39], v[148:149]
	v_mul_f64 v[140:141], v[84:85], s[34:35]
	v_add_f64 v[11:12], v[146:147], v[134:135]
	v_add_f64 v[134:135], v[150:151], v[136:137]
	;; [unrolled: 1-line block ×3, first 2 shown]
	v_fma_f64 v[19:20], v[49:50], s[54:55], v[152:153]
	v_mul_f64 v[136:137], v[47:48], s[0:1]
	v_add_f64 v[21:22], v[27:28], v[21:22]
	v_fma_f64 v[27:28], v[57:58], s[24:25], -v[29:30]
	v_add_f64 v[29:30], v[126:127], v[31:32]
	v_fma_f64 v[25:26], v[55:56], s[40:41], v[25:26]
	v_add_f64 v[31:32], v[154:155], v[138:139]
	v_fma_f64 v[126:127], v[33:34], s[46:47], v[156:157]
	;; [unrolled: 2-line block ×3, first 2 shown]
	v_fma_f64 v[142:143], v[82:83], s[50:51], v[160:161]
	v_mul_f64 v[150:151], v[43:44], s[52:53]
	v_fma_f64 v[154:155], v[35:36], s[44:45], v[162:163]
	v_mul_f64 v[164:165], v[74:75], s[54:55]
	v_add_f64 v[15:16], v[128:129], v[15:16]
	v_add_f64 v[124:125], v[130:131], v[124:125]
	v_fma_f64 v[128:129], v[33:34], s[46:47], -v[156:157]
	v_add_f64 v[130:131], v[13:14], v[172:173]
	v_fma_f64 v[156:157], v[76:77], s[22:23], v[140:141]
	v_fma_f64 v[162:163], v[35:36], s[54:55], v[162:163]
	v_mul_f64 v[166:167], v[88:89], s[60:61]
	v_mul_f64 v[174:175], v[37:38], s[58:59]
	v_add_f64 v[170:171], v[19:20], v[17:18]
	v_fma_f64 v[172:173], v[39:40], s[28:29], v[136:137]
	v_mul_f64 v[176:177], v[86:87], s[58:59]
	v_add_f64 v[21:22], v[27:28], v[21:22]
	v_fma_f64 v[27:28], v[45:46], s[46:47], -v[144:145]
	v_add_f64 v[25:26], v[25:26], v[29:30]
	v_fma_f64 v[29:30], v[49:50], s[44:45], v[152:153]
	v_mul_f64 v[146:147], v[78:79], s[22:23]
	v_add_f64 v[17:18], v[126:127], v[134:135]
	v_add_f64 v[126:127], v[138:139], v[132:133]
	;; [unrolled: 1-line block ×3, first 2 shown]
	v_fma_f64 v[142:143], v[33:34], s[58:59], v[150:151]
	v_fma_f64 v[144:145], v[80:81], s[38:39], -v[148:149]
	v_fma_f64 v[148:149], v[82:83], s[30:31], v[160:161]
	v_add_f64 v[19:20], v[154:155], v[31:32]
	v_mul_f64 v[154:155], v[84:85], s[40:41]
	v_add_f64 v[13:14], v[128:129], v[15:16]
	v_fma_f64 v[128:129], v[63:64], s[46:47], v[164:165]
	v_add_f64 v[31:32], v[156:157], v[130:131]
	v_mul_f64 v[130:131], v[67:68], s[20:21]
	v_fma_f64 v[152:153], v[80:81], s[58:59], v[166:167]
	v_add_f64 v[15:16], v[162:163], v[124:125]
	v_mul_f64 v[160:161], v[78:79], s[24:25]
	v_add_f64 v[124:125], v[172:173], v[170:171]
	v_fma_f64 v[156:157], v[82:83], s[52:53], v[176:177]
	v_fma_f64 v[162:163], v[35:36], s[60:61], v[174:175]
	v_add_f64 v[27:28], v[27:28], v[21:22]
	v_mul_f64 v[138:139], v[69:70], s[46:47]
	v_add_f64 v[25:26], v[29:30], v[25:26]
	v_fma_f64 v[29:30], v[41:42], s[0:1], -v[158:159]
	v_fma_f64 v[158:159], v[80:81], s[58:59], -v[166:167]
	v_fma_f64 v[134:135], v[71:72], s[16:17], v[146:147]
	v_fma_f64 v[140:141], v[76:77], s[22:23], -v[140:141]
	v_fma_f64 v[146:147], v[71:72], s[34:35], v[146:147]
	v_add_f64 v[144:145], v[144:145], v[208:209]
	v_add_f64 v[148:149], v[148:149], v[210:211]
	;; [unrolled: 1-line block ×3, first 2 shown]
	v_mul_f64 v[126:127], v[88:89], s[34:35]
	v_mul_f64 v[170:171], v[74:75], s[20:21]
	;; [unrolled: 1-line block ×3, first 2 shown]
	v_add_f64 v[31:32], v[128:129], v[31:32]
	v_mul_f64 v[128:129], v[86:87], s[22:23]
	v_fma_f64 v[142:143], v[57:58], s[18:19], v[130:131]
	v_add_f64 v[118:119], v[152:153], v[118:119]
	v_fma_f64 v[152:153], v[76:77], s[24:25], v[154:155]
	v_fma_f64 v[168:169], v[71:72], s[26:27], v[160:161]
	v_add_f64 v[156:157], v[156:157], v[23:24]
	v_add_f64 v[23:24], v[162:163], v[124:125]
	v_fma_f64 v[124:125], v[76:77], s[24:25], -v[154:155]
	v_mul_f64 v[166:167], v[65:66], s[18:19]
	v_mul_f64 v[178:179], v[65:66], s[38:39]
	v_add_f64 v[27:28], v[29:30], v[27:28]
	v_fma_f64 v[29:30], v[82:83], s[60:61], v[176:177]
	v_add_f64 v[116:117], v[158:159], v[116:117]
	v_add_f64 v[132:133], v[134:135], v[132:133]
	v_fma_f64 v[134:135], v[61:62], s[44:45], v[138:139]
	v_add_f64 v[140:141], v[140:141], v[144:145]
	v_add_f64 v[144:145], v[146:147], v[148:149]
	v_fma_f64 v[146:147], v[63:64], s[46:47], -v[164:165]
	v_fma_f64 v[148:149], v[80:81], s[22:23], v[126:127]
	v_mul_f64 v[164:165], v[84:85], s[44:45]
	v_mul_f64 v[176:177], v[78:79], s[46:47]
	v_fma_f64 v[138:139], v[61:62], s[54:55], v[138:139]
	v_fma_f64 v[162:163], v[82:83], s[16:17], v[128:129]
	v_add_f64 v[31:32], v[142:143], v[31:32]
	v_mul_f64 v[154:155], v[59:60], s[52:53]
	v_add_f64 v[118:119], v[152:153], v[118:119]
	v_fma_f64 v[152:153], v[63:64], s[18:19], v[170:171]
	v_add_f64 v[142:143], v[168:169], v[156:157]
	v_fma_f64 v[156:157], v[61:62], s[36:37], v[172:173]
	v_mul_f64 v[168:169], v[67:68], s[30:31]
	v_fma_f64 v[130:131], v[57:58], s[18:19], -v[130:131]
	v_mul_f64 v[182:183], v[69:70], s[58:59]
	v_fma_f64 v[136:137], v[39:40], s[14:15], v[136:137]
	v_add_f64 v[29:30], v[29:30], v[114:115]
	v_fma_f64 v[114:115], v[71:72], s[40:41], v[160:161]
	v_add_f64 v[116:117], v[124:125], v[116:117]
	v_fma_f64 v[124:125], v[63:64], s[18:19], -v[170:171]
	v_add_f64 v[132:133], v[134:135], v[132:133]
	v_fma_f64 v[134:135], v[55:56], s[36:37], v[166:167]
	v_add_f64 v[140:141], v[146:147], v[140:141]
	v_add_f64 v[110:111], v[148:149], v[110:111]
	v_fma_f64 v[146:147], v[76:77], s[46:47], v[164:165]
	v_fma_f64 v[148:149], v[71:72], s[54:55], v[176:177]
	v_mul_f64 v[158:159], v[53:54], s[58:59]
	v_add_f64 v[112:113], v[162:163], v[112:113]
	v_mul_f64 v[162:163], v[74:75], s[52:53]
	v_add_f64 v[138:139], v[138:139], v[144:145]
	v_fma_f64 v[144:145], v[55:56], s[20:21], v[166:167]
	v_add_f64 v[118:119], v[152:153], v[118:119]
	v_mul_f64 v[166:167], v[53:54], s[0:1]
	v_add_f64 v[142:143], v[156:157], v[142:143]
	v_fma_f64 v[152:153], v[57:58], s[38:39], v[168:169]
	v_fma_f64 v[156:157], v[55:56], s[50:51], v[178:179]
	;; [unrolled: 1-line block ×3, first 2 shown]
	v_add_f64 v[136:137], v[136:137], v[25:26]
	v_fma_f64 v[126:127], v[80:81], s[22:23], -v[126:127]
	v_add_f64 v[29:30], v[114:115], v[29:30]
	v_mul_f64 v[114:115], v[59:60], s[28:29]
	v_add_f64 v[116:117], v[124:125], v[116:117]
	v_fma_f64 v[124:125], v[57:58], s[38:39], -v[168:169]
	v_add_f64 v[132:133], v[134:135], v[132:133]
	v_fma_f64 v[134:135], v[45:46], s[58:59], v[154:155]
	v_add_f64 v[130:131], v[130:131], v[140:141]
	v_fma_f64 v[140:141], v[45:46], s[58:59], -v[154:155]
	v_add_f64 v[110:111], v[146:147], v[110:111]
	v_mul_f64 v[154:155], v[67:68], s[28:29]
	v_add_f64 v[112:113], v[148:149], v[112:113]
	v_fma_f64 v[146:147], v[63:64], s[58:59], v[162:163]
	v_fma_f64 v[148:149], v[61:62], s[60:61], v[182:183]
	v_mul_f64 v[168:169], v[65:66], s[0:1]
	v_fma_f64 v[160:161], v[49:50], s[60:61], v[158:159]
	v_add_f64 v[25:26], v[144:145], v[138:139]
	v_fma_f64 v[138:139], v[49:50], s[52:53], v[158:159]
	v_add_f64 v[118:119], v[152:153], v[118:119]
	v_add_f64 v[142:143], v[156:157], v[142:143]
	v_fma_f64 v[152:153], v[49:50], s[14:15], v[166:167]
	v_mul_f64 v[156:157], v[51:52], s[44:45]
	v_mul_f64 v[158:159], v[47:48], s[46:47]
	v_add_f64 v[29:30], v[172:173], v[29:30]
	v_fma_f64 v[144:145], v[45:46], s[0:1], v[114:115]
	v_fma_f64 v[172:173], v[55:56], s[30:31], v[178:179]
	v_add_f64 v[116:117], v[124:125], v[116:117]
	v_fma_f64 v[114:115], v[45:46], s[0:1], -v[114:115]
	v_fma_f64 v[124:125], v[33:34], s[58:59], -v[150:151]
	v_fma_f64 v[166:167], v[49:50], s[28:29], v[166:167]
	v_add_f64 v[130:131], v[140:141], v[130:131]
	v_fma_f64 v[128:129], v[82:83], s[34:35], v[128:129]
	v_fma_f64 v[140:141], v[57:58], s[0:1], v[154:155]
	v_add_f64 v[108:109], v[126:127], v[108:109]
	v_add_f64 v[110:111], v[146:147], v[110:111]
	;; [unrolled: 1-line block ×3, first 2 shown]
	v_fma_f64 v[146:147], v[55:56], s[14:15], v[168:169]
	v_mul_f64 v[148:149], v[59:60], s[26:27]
	v_fma_f64 v[126:127], v[76:77], s[46:47], -v[164:165]
	v_add_f64 v[138:139], v[138:139], v[25:26]
	v_mul_f64 v[164:165], v[78:79], s[0:1]
	v_mul_f64 v[78:79], v[78:79], s[58:59]
	v_add_f64 v[142:143], v[152:153], v[142:143]
	v_mul_f64 v[170:171], v[51:52], s[56:57]
	v_fma_f64 v[152:153], v[39:40], s[54:55], v[158:159]
	v_fma_f64 v[162:163], v[63:64], s[58:59], -v[162:163]
	v_add_f64 v[118:119], v[144:145], v[118:119]
	v_fma_f64 v[144:145], v[41:42], s[46:47], v[156:157]
	v_add_f64 v[29:30], v[172:173], v[29:30]
	v_add_f64 v[114:115], v[114:115], v[116:117]
	v_fma_f64 v[116:117], v[41:42], s[46:47], -v[156:157]
	v_mul_f64 v[156:157], v[88:89], s[36:37]
	v_mul_f64 v[172:173], v[86:87], s[18:19]
	v_add_f64 v[25:26], v[124:125], v[27:28]
	v_mul_f64 v[88:89], v[88:89], s[54:55]
	v_mul_f64 v[86:87], v[86:87], s[46:47]
	v_add_f64 v[27:28], v[140:141], v[110:111]
	v_add_f64 v[106:107], v[128:129], v[106:107]
	;; [unrolled: 1-line block ×3, first 2 shown]
	v_fma_f64 v[112:113], v[45:46], s[24:25], v[148:149]
	v_add_f64 v[108:109], v[126:127], v[108:109]
	v_add_f64 v[31:32], v[134:135], v[31:32]
	v_mul_f64 v[180:181], v[47:48], s[48:49]
	v_mul_f64 v[150:151], v[53:54], s[24:25]
	v_add_f64 v[132:133], v[160:161], v[132:133]
	v_fma_f64 v[134:135], v[41:42], s[48:49], v[170:171]
	v_add_f64 v[142:143], v[152:153], v[142:143]
	v_mul_f64 v[152:153], v[84:85], s[14:15]
	v_mul_f64 v[84:85], v[84:85], s[52:53]
	;; [unrolled: 1-line block ×3, first 2 shown]
	v_add_f64 v[29:30], v[166:167], v[29:30]
	v_mul_f64 v[178:179], v[37:38], s[24:25]
	v_add_f64 v[114:115], v[116:117], v[114:115]
	v_fma_f64 v[116:117], v[80:81], s[18:19], v[156:157]
	v_fma_f64 v[146:147], v[82:83], s[20:21], v[172:173]
	v_fma_f64 v[156:157], v[80:81], s[18:19], -v[156:157]
	v_fma_f64 v[166:167], v[82:83], s[36:37], v[172:173]
	v_fma_f64 v[128:129], v[82:83], s[44:45], v[86:87]
	;; [unrolled: 1-line block ×3, first 2 shown]
	v_mul_f64 v[172:173], v[67:68], s[44:45]
	v_mul_f64 v[67:68], v[67:68], s[42:43]
	v_add_f64 v[27:28], v[112:113], v[27:28]
	v_fma_f64 v[112:113], v[80:81], s[46:47], v[88:89]
	v_fma_f64 v[80:81], v[80:81], s[46:47], -v[88:89]
	v_mul_f64 v[86:87], v[51:52], s[30:31]
	v_fma_f64 v[160:161], v[39:40], s[42:43], v[180:181]
	v_add_f64 v[118:119], v[144:145], v[118:119]
	v_add_f64 v[31:32], v[134:135], v[31:32]
	v_fma_f64 v[134:135], v[41:42], s[48:49], -v[170:171]
	v_mul_f64 v[144:145], v[43:44], s[42:43]
	v_fma_f64 v[158:159], v[39:40], s[44:45], v[158:159]
	v_fma_f64 v[170:171], v[39:40], s[56:57], v[180:181]
	;; [unrolled: 1-line block ×4, first 2 shown]
	v_add_f64 v[102:103], v[116:117], v[102:103]
	v_add_f64 v[104:105], v[146:147], v[104:105]
	v_fma_f64 v[116:117], v[76:77], s[0:1], v[152:153]
	v_fma_f64 v[146:147], v[71:72], s[28:29], v[164:165]
	v_add_f64 v[100:101], v[156:157], v[100:101]
	v_mul_f64 v[156:157], v[74:75], s[56:57]
	v_add_f64 v[98:99], v[166:167], v[98:99]
	v_mul_f64 v[166:167], v[69:70], s[48:49]
	v_fma_f64 v[152:153], v[76:77], s[0:1], -v[152:153]
	v_add_f64 v[96:97], v[112:113], v[96:97]
	v_fma_f64 v[164:165], v[71:72], s[14:15], v[164:165]
	v_add_f64 v[94:95], v[128:129], v[94:95]
	v_fma_f64 v[128:129], v[76:77], s[58:59], v[84:85]
	;; [unrolled: 2-line block ×3, first 2 shown]
	v_mul_f64 v[74:75], v[74:75], s[40:41]
	v_mul_f64 v[69:70], v[69:70], s[24:25]
	v_add_f64 v[82:83], v[82:83], v[90:91]
	v_fma_f64 v[76:77], v[76:77], s[58:59], -v[84:85]
	v_fma_f64 v[78:79], v[71:72], s[52:53], v[78:79]
	v_fma_f64 v[71:72], v[71:72], s[44:45], v[176:177]
	v_add_f64 v[124:125], v[134:135], v[130:131]
	v_fma_f64 v[130:131], v[49:50], s[40:41], v[150:151]
	v_fma_f64 v[90:91], v[41:42], s[38:39], v[86:87]
	v_add_f64 v[102:103], v[116:117], v[102:103]
	v_add_f64 v[104:105], v[146:147], v[104:105]
	;; [unrolled: 1-line block ×3, first 2 shown]
	v_fma_f64 v[116:117], v[63:64], s[48:49], v[156:157]
	v_fma_f64 v[156:157], v[63:64], s[48:49], -v[156:157]
	v_fma_f64 v[146:147], v[61:62], s[42:43], v[166:167]
	v_add_f64 v[100:101], v[152:153], v[100:101]
	v_mul_f64 v[152:153], v[65:66], s[46:47]
	v_add_f64 v[98:99], v[164:165], v[98:99]
	v_fma_f64 v[166:167], v[61:62], s[56:57], v[166:167]
	v_add_f64 v[96:97], v[128:129], v[96:97]
	v_mul_f64 v[65:66], v[65:66], s[48:49]
	v_add_f64 v[92:93], v[92:93], v[94:95]
	v_fma_f64 v[94:95], v[63:64], s[24:25], v[74:75]
	v_fma_f64 v[128:129], v[61:62], s[26:27], v[69:70]
	v_fma_f64 v[63:64], v[63:64], s[24:25], -v[74:75]
	v_add_f64 v[76:77], v[76:77], v[80:81]
	v_add_f64 v[78:79], v[78:79], v[82:83]
	v_fma_f64 v[69:70], v[61:62], s[40:41], v[69:70]
	v_add_f64 v[71:72], v[71:72], v[106:107]
	v_fma_f64 v[61:62], v[61:62], s[52:53], v[182:183]
	v_add_f64 v[74:75], v[162:163], v[108:109]
	v_fma_f64 v[82:83], v[57:58], s[0:1], -v[154:155]
	v_fma_f64 v[106:107], v[57:58], s[46:47], v[172:173]
	v_fma_f64 v[154:155], v[57:58], s[46:47], -v[172:173]
	v_add_f64 v[102:103], v[116:117], v[102:103]
	v_mul_f64 v[116:117], v[59:60], s[30:31]
	v_add_f64 v[104:105], v[146:147], v[104:105]
	v_mul_f64 v[146:147], v[53:54], s[38:39]
	v_fma_f64 v[108:109], v[55:56], s[54:55], v[152:153]
	v_add_f64 v[100:101], v[156:157], v[100:101]
	v_add_f64 v[98:99], v[166:167], v[98:99]
	v_fma_f64 v[152:153], v[55:56], s[44:45], v[152:153]
	v_mul_f64 v[59:60], v[59:60], s[36:37]
	v_mul_f64 v[53:54], v[53:54], s[18:19]
	v_add_f64 v[94:95], v[94:95], v[96:97]
	v_add_f64 v[92:93], v[128:129], v[92:93]
	v_fma_f64 v[96:97], v[57:58], s[48:49], v[67:68]
	v_fma_f64 v[128:129], v[55:56], s[56:57], v[65:66]
	v_add_f64 v[63:64], v[63:64], v[76:77]
	v_add_f64 v[69:70], v[69:70], v[78:79]
	v_fma_f64 v[57:58], v[57:58], s[48:49], -v[67:68]
	v_fma_f64 v[65:66], v[55:56], s[42:43], v[65:66]
	v_add_f64 v[61:62], v[61:62], v[71:72]
	v_fma_f64 v[55:56], v[55:56], s[28:29], v[168:169]
	v_add_f64 v[67:68], v[82:83], v[74:75]
	v_fma_f64 v[71:72], v[45:46], s[24:25], -v[148:149]
	v_add_f64 v[74:75], v[106:107], v[102:103]
	v_fma_f64 v[78:79], v[45:46], s[38:39], v[116:117]
	v_mul_f64 v[102:103], v[51:52], s[40:41]
	v_fma_f64 v[82:83], v[49:50], s[50:51], v[146:147]
	v_add_f64 v[76:77], v[108:109], v[104:105]
	v_mul_f64 v[104:105], v[47:48], s[24:25]
	v_add_f64 v[100:101], v[154:155], v[100:101]
	v_add_f64 v[98:99], v[152:153], v[98:99]
	v_fma_f64 v[106:107], v[45:46], s[38:39], -v[116:117]
	v_fma_f64 v[108:109], v[49:50], s[30:31], v[146:147]
	v_fma_f64 v[116:117], v[49:50], s[20:21], v[53:54]
	v_mul_f64 v[51:52], v[51:52], s[16:17]
	v_add_f64 v[94:95], v[96:97], v[94:95]
	v_add_f64 v[92:93], v[128:129], v[92:93]
	v_fma_f64 v[96:97], v[45:46], s[18:19], v[59:60]
	v_mul_f64 v[47:48], v[47:48], s[22:23]
	v_add_f64 v[57:58], v[57:58], v[63:64]
	v_add_f64 v[63:64], v[65:66], v[69:70]
	v_fma_f64 v[45:46], v[45:46], s[18:19], -v[59:60]
	v_fma_f64 v[53:54], v[49:50], s[36:37], v[53:54]
	v_add_f64 v[55:56], v[55:56], v[61:62]
	v_fma_f64 v[49:50], v[49:50], s[26:27], v[150:151]
	v_mul_f64 v[164:165], v[43:44], s[36:37]
	v_add_f64 v[59:60], v[71:72], v[67:68]
	v_add_f64 v[65:66], v[78:79], v[74:75]
	v_fma_f64 v[69:70], v[41:42], s[24:25], v[102:103]
	v_add_f64 v[67:68], v[82:83], v[76:77]
	v_fma_f64 v[71:72], v[39:40], s[26:27], v[104:105]
	v_mul_f64 v[76:77], v[37:38], s[22:23]
	v_mul_f64 v[160:161], v[43:44], s[40:41]
	v_add_f64 v[110:111], v[130:131], v[110:111]
	v_mul_f64 v[130:131], v[37:38], s[48:49]
	v_fma_f64 v[84:85], v[39:40], s[50:51], v[126:127]
	v_mul_f64 v[80:81], v[37:38], s[18:19]
	v_fma_f64 v[61:62], v[41:42], s[38:39], -v[86:87]
	v_mul_f64 v[74:75], v[43:44], s[16:17]
	v_add_f64 v[78:79], v[106:107], v[100:101]
	v_add_f64 v[82:83], v[108:109], v[98:99]
	v_fma_f64 v[86:87], v[41:42], s[24:25], -v[102:103]
	v_fma_f64 v[98:99], v[39:40], s[40:41], v[104:105]
	v_add_f64 v[94:95], v[96:97], v[94:95]
	v_add_f64 v[92:93], v[116:117], v[92:93]
	v_fma_f64 v[96:97], v[41:42], s[22:23], v[51:52]
	v_fma_f64 v[100:101], v[39:40], s[34:35], v[47:48]
	v_mul_f64 v[43:44], v[43:44], s[28:29]
	v_mul_f64 v[37:38], v[37:38], s[0:1]
	v_add_f64 v[45:46], v[45:46], v[57:58]
	v_add_f64 v[53:54], v[53:54], v[63:64]
	v_fma_f64 v[41:42], v[41:42], s[22:23], -v[51:52]
	v_fma_f64 v[47:48], v[39:40], s[16:17], v[47:48]
	v_add_f64 v[51:52], v[90:91], v[27:28]
	v_add_f64 v[27:28], v[49:50], v[55:56]
	v_fma_f64 v[39:40], v[39:40], s[30:31], v[126:127]
	v_fma_f64 v[55:56], v[33:34], s[18:19], v[164:165]
	v_add_f64 v[63:64], v[69:70], v[65:66]
	v_add_f64 v[65:66], v[71:72], v[67:68]
	v_fma_f64 v[69:70], v[35:36], s[34:35], v[76:77]
	v_fma_f64 v[134:135], v[33:34], s[24:25], v[160:161]
	v_add_f64 v[49:50], v[84:85], v[110:111]
	v_fma_f64 v[57:58], v[35:36], s[20:21], v[80:81]
	v_add_f64 v[59:60], v[61:62], v[59:60]
	v_fma_f64 v[61:62], v[33:34], s[18:19], -v[164:165]
	v_fma_f64 v[67:68], v[33:34], s[22:23], v[74:75]
	v_add_f64 v[71:72], v[86:87], v[78:79]
	v_add_f64 v[78:79], v[98:99], v[82:83]
	;; [unrolled: 1-line block ×4, first 2 shown]
	v_fma_f64 v[86:87], v[33:34], s[0:1], v[43:44]
	v_fma_f64 v[90:91], v[35:36], s[14:15], v[37:38]
	v_add_f64 v[100:101], v[158:159], v[29:30]
	v_fma_f64 v[102:103], v[33:34], s[48:49], -v[144:145]
	v_fma_f64 v[104:105], v[35:36], s[42:43], v[130:131]
	v_add_f64 v[138:139], v[170:171], v[138:139]
	v_fma_f64 v[160:161], v[33:34], s[24:25], -v[160:161]
	v_fma_f64 v[170:171], v[35:36], s[40:41], v[178:179]
	v_fma_f64 v[88:89], v[33:34], s[48:49], v[144:145]
	v_fma_f64 v[112:113], v[35:36], s[56:57], v[130:131]
	v_add_f64 v[92:93], v[41:42], v[45:46]
	v_add_f64 v[47:48], v[47:48], v[53:54]
	v_fma_f64 v[94:95], v[33:34], s[0:1], -v[43:44]
	v_fma_f64 v[96:97], v[35:36], s[28:29], v[37:38]
	v_fma_f64 v[74:75], v[33:34], s[22:23], -v[74:75]
	v_fma_f64 v[76:77], v[35:36], s[16:17], v[76:77]
	v_add_f64 v[98:99], v[39:40], v[27:28]
	v_fma_f64 v[80:81], v[35:36], s[36:37], v[80:81]
	v_add_f64 v[41:42], v[55:56], v[51:52]
	v_add_f64 v[51:52], v[69:70], v[65:66]
	v_mul_u32_u24_e32 v69, 0x770, v122
	v_mul_lo_u16 v70, v122, 31
	v_add_f64 v[29:30], v[134:135], v[31:32]
	v_add_f64 v[31:32], v[140:141], v[132:133]
	;; [unrolled: 1-line block ×3, first 2 shown]
	v_add3_u32 v69, 0, v69, v123
	v_add_f64 v[45:46], v[61:62], v[59:60]
	v_add_f64 v[49:50], v[67:68], v[63:64]
	;; [unrolled: 1-line block ×15, first 2 shown]
	ds_write_b128 v69, v[5:8]
	ds_write_b128 v69, v[1:4] offset:112
	ds_write_b128 v69, v[17:20] offset:224
	;; [unrolled: 1-line block ×3, first 2 shown]
	v_lshrrev_b16 v1, 9, v70
	v_add_f64 v[47:48], v[80:81], v[98:99]
	ds_write_b128 v69, v[29:32] offset:448
	ds_write_b128 v69, v[37:40] offset:560
	;; [unrolled: 1-line block ×4, first 2 shown]
	v_mul_lo_u16 v1, v1, 17
	ds_write_b128 v69, v[57:60] offset:896
	ds_write_b128 v69, v[61:64] offset:1008
	;; [unrolled: 1-line block ×4, first 2 shown]
	v_sub_nc_u16 v94, v122, v1
	v_mov_b32_e32 v1, 8
	ds_write_b128 v69, v[65:68] offset:1344
	ds_write_b128 v69, v[33:36] offset:1456
	;; [unrolled: 1-line block ×5, first 2 shown]
	s_waitcnt lgkmcnt(0)
	s_barrier
	v_lshlrev_b32_sdwa v1, v1, v94 dst_sel:DWORD dst_unused:UNUSED_PAD src0_sel:DWORD src1_sel:BYTE_0
	buffer_gl0_inv
	s_clause 0xf
	global_load_dwordx4 v[21:24], v1, s[8:9]
	global_load_dwordx4 v[13:16], v1, s[8:9] offset:16
	global_load_dwordx4 v[9:12], v1, s[8:9] offset:32
	;; [unrolled: 1-line block ×15, first 2 shown]
	ds_read_b128 v[69:72], v121 offset:1904
	ds_read_b128 v[1:4], v121
	ds_read_b128 v[74:77], v121 offset:3808
	ds_read_b128 v[78:81], v121 offset:5712
	v_add_nc_u32_sdwa v0, v94, v0 dst_sel:DWORD dst_unused:UNUSED_PAD src0_sel:BYTE_0 src1_sel:WORD_0
	s_waitcnt vmcnt(15) lgkmcnt(3)
	v_mul_f64 v[82:83], v[71:72], v[23:24]
	s_waitcnt vmcnt(14) lgkmcnt(1)
	v_mul_f64 v[84:85], v[76:77], v[15:16]
	v_mul_f64 v[23:24], v[69:70], v[23:24]
	;; [unrolled: 1-line block ×3, first 2 shown]
	s_waitcnt vmcnt(13) lgkmcnt(0)
	v_mul_f64 v[88:89], v[80:81], v[11:12]
	v_mul_f64 v[11:12], v[78:79], v[11:12]
	v_fma_f64 v[82:83], v[69:70], v[21:22], v[82:83]
	v_fma_f64 v[74:75], v[74:75], v[13:14], v[84:85]
	v_fma_f64 v[86:87], v[71:72], v[21:22], -v[23:24]
	ds_read_b128 v[21:24], v121 offset:7616
	ds_read_b128 v[69:72], v121 offset:9520
	v_fma_f64 v[76:77], v[76:77], v[13:14], -v[15:16]
	v_fma_f64 v[88:89], v[78:79], v[9:10], v[88:89]
	v_fma_f64 v[78:79], v[80:81], v[9:10], -v[11:12]
	v_add_f64 v[84:85], v[1:2], v[82:83]
	s_waitcnt vmcnt(12) lgkmcnt(1)
	v_mul_f64 v[90:91], v[23:24], v[7:8]
	v_add_f64 v[13:14], v[3:4], v[86:87]
	v_mul_f64 v[80:81], v[21:22], v[7:8]
	ds_read_b128 v[7:10], v121 offset:11424
	v_add_f64 v[15:16], v[84:85], v[74:75]
	v_fma_f64 v[95:96], v[21:22], v[5:6], v[90:91]
	s_waitcnt vmcnt(11) lgkmcnt(1)
	v_mul_f64 v[21:22], v[71:72], v[31:32]
	v_add_f64 v[84:85], v[13:14], v[76:77]
	ds_read_b128 v[11:14], v121 offset:13328
	v_mul_f64 v[31:32], v[69:70], v[31:32]
	s_waitcnt vmcnt(10) lgkmcnt(1)
	v_mul_f64 v[90:91], v[9:10], v[27:28]
	v_fma_f64 v[97:98], v[23:24], v[5:6], -v[80:81]
	v_mul_f64 v[27:28], v[7:8], v[27:28]
	v_add_f64 v[15:16], v[15:16], v[88:89]
	v_fma_f64 v[99:100], v[69:70], v[29:30], v[21:22]
	v_add_f64 v[69:70], v[84:85], v[78:79]
	v_fma_f64 v[71:72], v[71:72], v[29:30], -v[31:32]
	v_fma_f64 v[101:102], v[7:8], v[25:26], v[90:91]
	s_waitcnt vmcnt(9) lgkmcnt(0)
	v_mul_f64 v[29:30], v[13:14], v[19:20]
	ds_read_b128 v[5:8], v121 offset:30464
	ds_read_b128 v[21:24], v121 offset:15232
	v_mul_f64 v[19:20], v[11:12], v[19:20]
	v_fma_f64 v[103:104], v[9:10], v[25:26], -v[27:28]
	ds_read_b128 v[25:28], v121 offset:17136
	v_add_f64 v[15:16], v[15:16], v[95:96]
	v_add_f64 v[31:32], v[69:70], v[97:98]
	s_waitcnt vmcnt(8) lgkmcnt(2)
	v_mul_f64 v[69:70], v[5:6], v[67:68]
	s_waitcnt vmcnt(7) lgkmcnt(1)
	v_mul_f64 v[84:85], v[23:24], v[63:64]
	v_fma_f64 v[105:106], v[11:12], v[17:18], v[29:30]
	ds_read_b128 v[9:12], v121 offset:28560
	v_mul_f64 v[67:68], v[7:8], v[67:68]
	v_mul_f64 v[63:64], v[21:22], v[63:64]
	v_fma_f64 v[107:108], v[13:14], v[17:18], -v[19:20]
	v_add_f64 v[15:16], v[15:16], v[99:100]
	v_add_f64 v[90:91], v[31:32], v[71:72]
	ds_read_b128 v[29:32], v121 offset:19040
	v_fma_f64 v[80:81], v[7:8], v[65:66], -v[69:70]
	s_waitcnt vmcnt(6) lgkmcnt(1)
	v_mul_f64 v[7:8], v[9:10], v[55:56]
	v_fma_f64 v[109:110], v[21:22], v[61:62], v[84:85]
	s_waitcnt vmcnt(5)
	v_mul_f64 v[84:85], v[27:28], v[59:60]
	v_mul_f64 v[113:114], v[25:26], v[59:60]
	;; [unrolled: 1-line block ×3, first 2 shown]
	v_fma_f64 v[63:64], v[23:24], v[61:62], -v[63:64]
	ds_read_b128 v[59:62], v121 offset:24752
	ds_read_b128 v[18:21], v121 offset:20944
	v_add_f64 v[92:93], v[15:16], v[101:102]
	ds_read_b128 v[13:16], v121 offset:26656
	s_waitcnt vmcnt(4) lgkmcnt(3)
	v_mul_f64 v[115:116], v[31:32], v[51:52]
	v_add_f64 v[111:112], v[90:91], v[103:104]
	v_fma_f64 v[90:91], v[5:6], v[65:66], v[67:68]
	v_add_f64 v[69:70], v[86:87], -v[80:81]
	v_fma_f64 v[124:125], v[11:12], v[53:54], -v[7:8]
	v_add_f64 v[7:8], v[86:87], v[80:81]
	v_fma_f64 v[67:68], v[25:26], v[57:58], v[84:85]
	v_mul_f64 v[24:25], v[29:30], v[51:52]
	s_waitcnt vmcnt(3) lgkmcnt(0)
	v_mul_f64 v[117:118], v[13:14], v[47:48]
	v_add_f64 v[92:93], v[92:93], v[105:106]
	v_add_f64 v[11:12], v[111:112], v[107:108]
	v_fma_f64 v[111:112], v[27:28], v[57:58], -v[113:114]
	v_fma_f64 v[113:114], v[29:30], v[49:50], v[115:116]
	ds_read_b128 v[55:58], v121 offset:22848
	s_waitcnt vmcnt(2)
	v_mul_f64 v[65:66], v[20:21], v[43:44]
	v_mul_f64 v[26:27], v[15:16], v[47:48]
	v_add_f64 v[5:6], v[82:83], -v[90:91]
	v_add_f64 v[47:48], v[76:77], -v[124:125]
	v_mul_f64 v[86:87], v[7:8], s[46:47]
	v_add_f64 v[51:52], v[76:77], v[124:125]
	s_waitcnt vmcnt(1)
	v_mul_f64 v[28:29], v[59:60], v[35:36]
	v_mul_f64 v[35:36], v[61:62], v[35:36]
	v_mul_f64 v[130:131], v[7:8], s[24:25]
	v_mul_f64 v[128:129], v[69:70], s[26:27]
	v_mul_f64 v[136:137], v[69:70], s[20:21]
	v_fma_f64 v[115:116], v[15:16], v[45:46], -v[117:118]
	v_add_f64 v[22:23], v[92:93], v[109:110]
	v_fma_f64 v[117:118], v[9:10], v[53:54], v[122:123]
	v_add_f64 v[9:10], v[82:83], v[90:91]
	v_mul_f64 v[92:93], v[69:70], s[44:45]
	v_add_f64 v[11:12], v[11:12], v[63:64]
	v_fma_f64 v[121:122], v[31:32], v[49:50], -v[24:25]
	v_mul_f64 v[30:31], v[18:19], v[43:44]
	v_fma_f64 v[49:50], v[18:19], v[41:42], v[65:66]
	s_waitcnt vmcnt(0) lgkmcnt(0)
	v_mul_f64 v[43:44], v[57:58], v[39:40]
	v_mul_f64 v[39:40], v[55:56], v[39:40]
	v_fma_f64 v[65:66], v[13:14], v[45:46], v[26:27]
	v_mul_f64 v[84:85], v[47:48], s[26:27]
	v_fma_f64 v[53:54], v[5:6], s[54:55], v[86:87]
	v_fma_f64 v[61:62], v[61:62], v[33:34], -v[28:29]
	v_mul_f64 v[138:139], v[51:52], s[0:1]
	v_fma_f64 v[140:141], v[5:6], s[40:41], v[130:131]
	v_mul_f64 v[134:135], v[47:48], s[14:15]
	v_mul_f64 v[146:147], v[47:48], s[42:43]
	;; [unrolled: 1-line block ×3, first 2 shown]
	v_fma_f64 v[130:131], v[5:6], s[26:27], v[130:131]
	v_add_f64 v[26:27], v[78:79], -v[115:116]
	v_add_f64 v[22:23], v[22:23], v[67:68]
	v_add_f64 v[16:17], v[74:75], v[117:118]
	v_add_f64 v[18:19], v[74:75], -v[117:118]
	v_add_f64 v[24:25], v[78:79], v[115:116]
	v_fma_f64 v[45:46], v[9:10], s[46:47], v[92:93]
	v_mul_f64 v[78:79], v[51:52], s[24:25]
	v_add_f64 v[76:77], v[11:12], v[111:112]
	v_fma_f64 v[126:127], v[20:21], v[41:42], -v[30:31]
	v_fma_f64 v[41:42], v[55:56], v[37:38], v[43:44]
	v_fma_f64 v[55:56], v[57:58], v[37:38], -v[39:40]
	v_fma_f64 v[57:58], v[59:60], v[33:34], v[35:36]
	v_add_f64 v[12:13], v[88:89], v[65:66]
	v_add_f64 v[14:15], v[88:89], -v[65:66]
	v_add_f64 v[43:44], v[3:4], v[53:54]
	v_add_f64 v[20:21], v[97:98], v[61:62]
	v_add_co_u32 v11, s8, s63, v120
	v_mul_f64 v[119:120], v[7:8], s[18:19]
	v_fma_f64 v[132:133], v[9:10], s[24:25], v[128:129]
	v_fma_f64 v[144:145], v[9:10], s[18:19], v[136:137]
	v_mad_u64_u32 v[142:143], null, v11, s4, 0
	v_add_f64 v[22:23], v[22:23], v[113:114]
	v_mul_f64 v[82:83], v[26:27], s[20:21]
	v_fma_f64 v[38:39], v[16:17], s[24:25], v[84:85]
	v_mul_f64 v[74:75], v[24:25], s[18:19]
	v_add_f64 v[36:37], v[1:2], v[45:46]
	v_fma_f64 v[45:46], v[18:19], s[40:41], v[78:79]
	v_add_f64 v[53:54], v[76:77], v[121:122]
	v_mul_f64 v[156:157], v[24:25], s[48:49]
	v_fma_f64 v[158:159], v[18:19], s[28:29], v[138:139]
	v_add_f64 v[32:33], v[71:72], v[55:56]
	v_add_f64 v[28:29], v[95:96], v[57:58]
	v_add_f64 v[30:31], v[95:96], -v[57:58]
	v_add_f64 v[34:35], v[71:72], -v[55:56]
	v_add_f64 v[140:141], v[3:4], v[140:141]
	v_mul_f64 v[76:77], v[20:21], s[0:1]
	v_fma_f64 v[152:153], v[16:17], s[0:1], v[134:135]
	v_mul_f64 v[154:155], v[26:27], s[42:43]
	v_fma_f64 v[148:149], v[5:6], s[36:37], v[119:120]
	v_add_f64 v[132:133], v[1:2], v[132:133]
	v_fma_f64 v[162:163], v[18:19], s[56:57], v[150:151]
	v_mul_f64 v[164:165], v[26:27], s[50:51]
	v_mul_f64 v[166:167], v[24:25], s[38:39]
	v_add_f64 v[59:60], v[22:23], v[49:50]
	v_add_f64 v[22:23], v[97:98], -v[61:62]
	v_fma_f64 v[71:72], v[12:13], s[18:19], v[82:83]
	v_fma_f64 v[95:96], v[14:15], s[36:37], v[74:75]
	v_add_f64 v[97:98], v[38:39], v[36:37]
	v_add_f64 v[44:45], v[45:46], v[43:44]
	;; [unrolled: 1-line block ×3, first 2 shown]
	v_add_co_ci_u32_e64 v36, null, 0, 0, s8
	v_mul_lo_u32 v46, v11, s5
	v_add_f64 v[38:39], v[99:100], -v[41:42]
	v_mul_f64 v[170:171], v[20:21], s[38:39]
	v_mul_lo_u32 v11, v36, s4
	v_add_f64 v[36:37], v[99:100], v[41:42]
	v_fma_f64 v[174:175], v[14:15], s[56:57], v[156:157]
	v_add_f64 v[140:141], v[158:159], v[140:141]
	v_fma_f64 v[172:173], v[12:13], s[48:49], v[154:155]
	v_add_f64 v[148:149], v[3:4], v[148:149]
	v_add_f64 v[132:133], v[152:153], v[132:133]
	v_mul_f64 v[182:183], v[34:35], s[40:41]
	v_mul_f64 v[184:185], v[32:33], s[24:25]
	v_add3_u32 v143, v143, v46, v11
	v_add_f64 v[59:60], v[59:60], v[41:42]
	v_mul_f64 v[88:89], v[22:23], s[14:15]
	v_add_f64 v[40:41], v[103:104], v[126:127]
	v_add_f64 v[42:43], v[103:104], -v[126:127]
	v_mul_f64 v[103:104], v[34:35], s[16:17]
	v_mul_f64 v[126:127], v[32:33], s[22:23]
	v_add_f64 v[71:72], v[71:72], v[97:98]
	v_fma_f64 v[97:98], v[30:31], s[28:29], v[76:77]
	v_add_f64 v[99:100], v[53:54], v[55:56]
	v_add_f64 v[53:54], v[107:108], v[121:122]
	v_add_f64 v[55:56], v[107:108], -v[121:122]
	v_mul_f64 v[168:169], v[22:23], s[30:31]
	v_mul_f64 v[158:159], v[22:23], s[34:35]
	s_lshl_b64 s[4:5], s[10:11], 4
	v_lshlrev_b64 v[142:143], 4, v[142:143]
	v_add_f64 v[140:141], v[174:175], v[140:141]
	v_mul_f64 v[174:175], v[32:33], s[58:59]
	s_add_u32 s4, s2, s4
	v_add_f64 v[132:133], v[172:173], v[132:133]
	v_mul_f64 v[172:173], v[34:35], s[60:61]
	v_fma_f64 v[186:187], v[38:39], s[26:27], v[184:185]
	s_addc_u32 s5, s3, s5
	v_add_f64 v[57:58], v[59:60], v[57:58]
	v_add_f64 v[59:60], v[95:96], v[44:45]
	v_fma_f64 v[95:96], v[28:29], s[0:1], v[88:89]
	v_add_f64 v[44:45], v[101:102], v[49:50]
	v_add_f64 v[49:50], v[101:102], -v[49:50]
	v_mul_f64 v[107:108], v[42:43], s[42:43]
	v_mul_f64 v[121:122], v[40:41], s[48:49]
	v_fma_f64 v[101:102], v[36:37], s[22:23], v[103:104]
	v_fma_f64 v[160:161], v[38:39], s[34:35], v[126:127]
	v_mul_f64 v[152:153], v[53:54], s[58:59]
	v_mul_f64 v[188:189], v[42:43], s[44:45]
	;; [unrolled: 1-line block ×3, first 2 shown]
	s_lshl_b64 s[2:3], s[12:13], 4
	v_mul_f64 v[192:193], v[53:54], s[18:19]
	s_add_u32 s2, s4, s2
	s_addc_u32 s3, s5, s3
	v_add_co_u32 v46, vcc_lo, s2, v142
	s_mul_i32 s2, s6, 17
	v_fma_f64 v[92:93], v[9:10], s[46:47], -v[92:93]
	v_fma_f64 v[128:129], v[9:10], s[24:25], -v[128:129]
	v_fma_f64 v[78:79], v[18:19], s[26:27], v[78:79]
	v_add_f64 v[65:66], v[57:58], v[65:66]
	v_add_f64 v[57:58], v[105:106], v[113:114]
	;; [unrolled: 1-line block ×5, first 2 shown]
	v_fma_f64 v[144:145], v[16:17], s[48:49], v[146:147]
	v_add_f64 v[98:99], v[99:100], v[61:62]
	v_add_f64 v[59:60], v[105:106], -v[113:114]
	v_add_f64 v[61:62], v[63:64], v[111:112]
	v_add_f64 v[63:64], v[63:64], -v[111:112]
	v_fma_f64 v[105:106], v[44:45], s[48:49], v[107:108]
	v_fma_f64 v[111:112], v[49:50], s[56:57], v[121:122]
	v_mul_f64 v[113:114], v[55:56], s[52:53]
	v_fma_f64 v[82:83], v[12:13], s[18:19], -v[82:83]
	v_add_f64 v[130:131], v[3:4], v[130:131]
	v_fma_f64 v[119:120], v[5:6], s[20:21], v[119:120]
	v_fma_f64 v[74:75], v[14:15], s[20:21], v[74:75]
	v_fma_f64 v[88:89], v[28:29], s[0:1], -v[88:89]
	v_fma_f64 v[76:77], v[30:31], s[14:15], v[76:77]
	v_add_f64 v[71:72], v[101:102], v[71:72]
	v_add_f64 v[94:95], v[160:161], v[94:95]
	;; [unrolled: 1-line block ×4, first 2 shown]
	v_fma_f64 v[144:145], v[12:13], s[38:39], v[164:165]
	v_fma_f64 v[148:149], v[14:15], s[30:31], v[166:167]
	v_mul_f64 v[160:161], v[20:21], s[22:23]
	v_add_f64 v[98:99], v[98:99], v[115:116]
	v_add_f64 v[115:116], v[65:66], v[117:118]
	v_fma_f64 v[162:163], v[30:31], s[50:51], v[170:171]
	v_fma_f64 v[117:118], v[28:29], s[38:39], v[168:169]
	v_add_f64 v[65:66], v[109:110], v[67:68]
	v_add_f64 v[67:68], v[109:110], -v[67:68]
	v_fma_f64 v[176:177], v[59:60], s[60:61], v[152:153]
	v_mul_f64 v[178:179], v[63:64], s[30:31]
	v_mul_f64 v[180:181], v[61:62], s[38:39]
	v_add_f64 v[105:106], v[105:106], v[71:72]
	v_add_f64 v[109:110], v[111:112], v[94:95]
	v_fma_f64 v[111:112], v[57:58], s[58:59], v[113:114]
	v_mul_lo_u32 v72, v0, s6
	v_add_f64 v[96:97], v[144:145], v[96:97]
	v_add_f64 v[100:101], v[148:149], v[100:101]
	v_fma_f64 v[144:145], v[28:29], s[22:23], v[158:159]
	v_fma_f64 v[148:149], v[30:31], s[16:17], v[160:161]
	v_add_f64 v[98:99], v[98:99], v[124:125]
	v_add_f64 v[94:95], v[115:116], v[90:91]
	;; [unrolled: 1-line block ×3, first 2 shown]
	v_fma_f64 v[123:124], v[38:39], s[52:53], v[174:175]
	v_mul_f64 v[140:141], v[40:41], s[22:23]
	v_add_f64 v[90:91], v[117:118], v[132:133]
	v_fma_f64 v[117:118], v[36:37], s[58:59], v[172:173]
	v_mul_f64 v[132:133], v[42:43], s[34:35]
	v_fma_f64 v[162:163], v[67:68], s[50:51], v[180:181]
	v_add_co_ci_u32_e32 v71, vcc_lo, s3, v143, vcc_lo
	v_mul_f64 v[142:143], v[55:56], s[36:37]
	v_add_f64 v[109:110], v[176:177], v[109:110]
	v_add_f64 v[105:106], v[111:112], v[105:106]
	v_fma_f64 v[111:112], v[65:66], s[38:39], v[178:179]
	v_fma_f64 v[176:177], v[36:37], s[24:25], v[182:183]
	v_add_f64 v[144:145], v[144:145], v[96:97]
	v_add_f64 v[148:149], v[148:149], v[100:101]
	;; [unrolled: 1-line block ×3, first 2 shown]
	v_lshlrev_b64 v[80:81], 4, v[72:73]
	v_add_nc_u32_e32 v72, s2, v72
	v_add_f64 v[115:116], v[123:124], v[115:116]
	v_fma_f64 v[123:124], v[49:50], s[16:17], v[140:141]
	v_add_f64 v[90:91], v[117:118], v[90:91]
	v_fma_f64 v[117:118], v[44:45], s[22:23], v[132:133]
	v_add_co_u32 v80, vcc_lo, v46, v80
	v_add_co_ci_u32_e32 v81, vcc_lo, v71, v81, vcc_lo
	v_add_f64 v[100:101], v[162:163], v[109:110]
	v_mul_f64 v[162:163], v[53:54], s[0:1]
	v_add_f64 v[98:99], v[111:112], v[105:106]
	v_fma_f64 v[111:112], v[44:45], s[46:47], v[188:189]
	v_add_f64 v[105:106], v[176:177], v[144:145]
	v_add_f64 v[109:110], v[186:187], v[148:149]
	v_fma_f64 v[144:145], v[49:50], s[54:55], v[190:191]
	v_mul_f64 v[148:149], v[55:56], s[14:15]
	v_lshlrev_b64 v[176:177], 4, v[72:73]
	global_store_dwordx4 v[80:81], v[94:97], off
	v_add_f64 v[94:95], v[123:124], v[115:116]
	v_fma_f64 v[115:116], v[59:60], s[20:21], v[192:193]
	v_mul_f64 v[123:124], v[61:62], s[46:47]
	v_add_f64 v[90:91], v[117:118], v[90:91]
	v_add_co_u32 v80, vcc_lo, v46, v176
	v_add_co_ci_u32_e32 v81, vcc_lo, v71, v177, vcc_lo
	v_fma_f64 v[96:97], v[57:58], s[18:19], v[142:143]
	v_mul_f64 v[117:118], v[63:64], s[54:55]
	v_add_f64 v[176:177], v[1:2], v[92:93]
	v_fma_f64 v[186:187], v[16:17], s[24:25], -v[84:85]
	v_add_nc_u32_e32 v72, s2, v72
	global_store_dwordx4 v[80:81], v[98:101], off
	v_mul_f64 v[80:81], v[61:62], s[58:59]
	v_add_f64 v[98:99], v[111:112], v[105:106]
	v_mul_f64 v[111:112], v[63:64], s[52:53]
	v_add_f64 v[100:101], v[144:145], v[109:110]
	v_fma_f64 v[105:106], v[57:58], s[0:1], v[148:149]
	v_fma_f64 v[109:110], v[59:60], s[28:29], v[162:163]
	v_fma_f64 v[144:145], v[5:6], s[44:45], v[86:87]
	v_lshlrev_b64 v[92:93], 4, v[72:73]
	v_add_f64 v[94:95], v[115:116], v[94:95]
	v_fma_f64 v[115:116], v[67:68], s[44:45], v[123:124]
	v_add_nc_u32_e32 v72, s2, v72
	v_add_f64 v[90:91], v[96:97], v[90:91]
	v_fma_f64 v[96:97], v[65:66], s[46:47], v[117:118]
	v_add_f64 v[98:99], v[105:106], v[98:99]
	v_add_f64 v[100:101], v[109:110], v[100:101]
	v_fma_f64 v[105:106], v[65:66], s[58:59], v[111:112]
	v_fma_f64 v[109:110], v[67:68], s[60:61], v[80:81]
	;; [unrolled: 1-line block ×3, first 2 shown]
	v_add_f64 v[86:87], v[115:116], v[94:95]
	v_add_co_u32 v94, vcc_lo, v46, v92
	v_add_co_ci_u32_e32 v95, vcc_lo, v71, v93, vcc_lo
	v_add_f64 v[115:116], v[1:2], v[128:129]
	v_fma_f64 v[128:129], v[16:17], s[0:1], -v[134:135]
	v_add_f64 v[84:85], v[96:97], v[90:91]
	v_fma_f64 v[134:135], v[18:19], s[14:15], v[138:139]
	v_lshlrev_b64 v[96:97], 4, v[72:73]
	v_mul_f64 v[138:139], v[69:70], s[42:43]
	v_add_nc_u32_e32 v72, s2, v72
	v_add_co_u32 v96, vcc_lo, v46, v96
	v_add_co_ci_u32_e32 v97, vcc_lo, v71, v97, vcc_lo
	v_add_f64 v[90:91], v[105:106], v[98:99]
	v_add_f64 v[92:93], v[109:110], v[100:101]
	v_mul_f64 v[98:99], v[69:70], s[14:15]
	v_add_f64 v[100:101], v[3:4], v[144:145]
	v_add_f64 v[105:106], v[186:187], v[176:177]
	v_fma_f64 v[109:110], v[9:10], s[18:19], -v[136:137]
	v_mul_f64 v[136:137], v[69:70], s[16:17]
	global_store_dwordx4 v[94:95], v[84:87], off
	v_add_f64 v[94:95], v[128:129], v[115:116]
	v_mul_f64 v[84:85], v[69:70], s[52:53]
	v_mul_f64 v[69:70], v[69:70], s[30:31]
	v_fma_f64 v[115:116], v[18:19], s[42:43], v[150:151]
	v_mul_f64 v[150:151], v[7:8], s[58:59]
	global_store_dwordx4 v[96:97], v[90:93], off
	v_fma_f64 v[86:87], v[9:10], s[0:1], v[98:99]
	v_fma_f64 v[90:91], v[9:10], s[0:1], -v[98:99]
	v_add_f64 v[78:79], v[78:79], v[100:101]
	v_add_f64 v[82:83], v[82:83], v[105:106]
	v_fma_f64 v[96:97], v[12:13], s[48:49], -v[154:155]
	v_add_f64 v[98:99], v[134:135], v[130:131]
	v_fma_f64 v[100:101], v[14:15], s[42:43], v[156:157]
	v_add_f64 v[92:93], v[1:2], v[109:110]
	v_add_f64 v[105:106], v[3:4], v[119:120]
	v_fma_f64 v[109:110], v[16:17], s[48:49], -v[146:147]
	v_fma_f64 v[119:120], v[9:10], s[22:23], v[136:137]
	v_fma_f64 v[128:129], v[9:10], s[22:23], -v[136:137]
	v_fma_f64 v[130:131], v[9:10], s[48:49], v[138:139]
	v_mul_f64 v[134:135], v[7:8], s[0:1]
	v_fma_f64 v[136:137], v[9:10], s[48:49], -v[138:139]
	v_mul_f64 v[138:139], v[7:8], s[22:23]
	v_mul_f64 v[146:147], v[7:8], s[48:49]
	v_mul_f64 v[7:8], v[7:8], s[38:39]
	v_fma_f64 v[144:145], v[9:10], s[58:59], v[84:85]
	v_fma_f64 v[84:85], v[9:10], s[58:59], -v[84:85]
	v_fma_f64 v[154:155], v[9:10], s[38:39], v[69:70]
	v_fma_f64 v[9:10], v[9:10], s[38:39], -v[69:70]
	v_fma_f64 v[156:157], v[5:6], s[60:61], v[150:151]
	v_fma_f64 v[150:151], v[5:6], s[52:53], v[150:151]
	v_add_f64 v[74:75], v[74:75], v[78:79]
	v_add_f64 v[78:79], v[88:89], v[82:83]
	v_fma_f64 v[82:83], v[36:37], s[22:23], -v[103:104]
	v_add_f64 v[88:89], v[96:97], v[94:95]
	v_fma_f64 v[94:95], v[28:29], s[38:39], -v[168:169]
	v_add_f64 v[96:97], v[100:101], v[98:99]
	v_fma_f64 v[98:99], v[30:31], s[30:31], v[170:171]
	v_add_f64 v[92:93], v[109:110], v[92:93]
	v_add_f64 v[100:101], v[115:116], v[105:106]
	v_fma_f64 v[102:103], v[12:13], s[38:39], -v[164:165]
	v_fma_f64 v[104:105], v[14:15], s[50:51], v[166:167]
	v_fma_f64 v[69:70], v[5:6], s[28:29], v[134:135]
	;; [unrolled: 1-line block ×7, first 2 shown]
	v_mul_f64 v[164:165], v[47:48], s[30:31]
	v_fma_f64 v[166:167], v[5:6], s[50:51], v[7:8]
	v_fma_f64 v[5:6], v[5:6], s[30:31], v[7:8]
	v_add_f64 v[86:87], v[1:2], v[86:87]
	v_add_f64 v[90:91], v[1:2], v[90:91]
	;; [unrolled: 1-line block ×3, first 2 shown]
	v_fma_f64 v[76:77], v[38:39], s[16:17], v[126:127]
	v_add_f64 v[74:75], v[82:83], v[78:79]
	v_fma_f64 v[82:83], v[36:37], s[58:59], -v[172:173]
	v_add_f64 v[78:79], v[94:95], v[88:89]
	v_fma_f64 v[88:89], v[44:45], s[48:49], -v[107:108]
	v_add_f64 v[94:95], v[98:99], v[96:97]
	v_fma_f64 v[96:97], v[38:39], s[60:61], v[174:175]
	v_add_f64 v[106:107], v[1:2], v[119:120]
	v_add_f64 v[92:93], v[102:103], v[92:93]
	;; [unrolled: 1-line block ×3, first 2 shown]
	v_fma_f64 v[100:101], v[28:29], s[22:23], -v[158:159]
	v_fma_f64 v[102:103], v[30:31], s[34:35], v[160:161]
	v_add_f64 v[104:105], v[3:4], v[109:110]
	v_mul_f64 v[108:109], v[51:52], s[38:39]
	v_mul_f64 v[125:126], v[26:27], s[34:35]
	v_add_f64 v[69:70], v[3:4], v[69:70]
	v_fma_f64 v[119:120], v[16:17], s[38:39], v[164:165]
	v_mul_f64 v[158:159], v[47:48], s[60:61]
	v_mul_f64 v[160:161], v[51:52], s[58:59]
	v_add_f64 v[115:116], v[3:4], v[115:116]
	v_add_f64 v[127:128], v[1:2], v[128:129]
	;; [unrolled: 1-line block ×4, first 2 shown]
	v_fma_f64 v[76:77], v[49:50], s[42:43], v[121:122]
	v_add_f64 v[121:122], v[1:2], v[136:137]
	v_add_f64 v[78:79], v[82:83], v[78:79]
	v_fma_f64 v[82:83], v[44:45], s[22:23], -v[132:133]
	v_add_f64 v[74:75], v[88:89], v[74:75]
	v_add_f64 v[88:89], v[96:97], v[94:95]
	v_fma_f64 v[94:95], v[49:50], s[34:35], v[140:141]
	v_fma_f64 v[96:97], v[57:58], s[58:59], -v[113:114]
	v_add_f64 v[113:114], v[3:4], v[138:139]
	v_add_f64 v[92:93], v[100:101], v[92:93]
	;; [unrolled: 1-line block ×3, first 2 shown]
	v_fma_f64 v[100:101], v[36:37], s[24:25], -v[182:183]
	v_fma_f64 v[102:103], v[38:39], s[40:41], v[184:185]
	v_fma_f64 v[136:137], v[18:19], s[50:51], v[108:109]
	v_mul_f64 v[138:139], v[24:25], s[22:23]
	v_add_f64 v[86:87], v[119:120], v[86:87]
	v_fma_f64 v[119:120], v[12:13], s[22:23], v[125:126]
	v_mul_f64 v[140:141], v[22:23], s[54:55]
	v_fma_f64 v[108:109], v[18:19], s[30:31], v[108:109]
	v_add_f64 v[129:130], v[1:2], v[130:131]
	v_add_f64 v[131:132], v[3:4], v[146:147]
	;; [unrolled: 1-line block ×4, first 2 shown]
	v_fma_f64 v[76:77], v[59:60], s[52:53], v[152:153]
	v_mul_f64 v[152:153], v[20:21], s[46:47]
	v_add_f64 v[78:79], v[82:83], v[78:79]
	v_fma_f64 v[82:83], v[57:58], s[18:19], -v[142:143]
	v_add_f64 v[146:147], v[3:4], v[156:157]
	v_add_f64 v[88:89], v[94:95], v[88:89]
	v_fma_f64 v[94:95], v[59:60], s[36:37], v[192:193]
	v_add_f64 v[74:75], v[96:97], v[74:75]
	v_add_f64 v[84:85], v[1:2], v[84:85]
	;; [unrolled: 1-line block ×5, first 2 shown]
	v_fma_f64 v[98:99], v[44:45], s[46:47], -v[188:189]
	v_fma_f64 v[100:101], v[49:50], s[44:45], v[190:191]
	v_fma_f64 v[102:103], v[65:66], s[38:39], -v[178:179]
	v_add_f64 v[69:70], v[136:137], v[69:70]
	v_fma_f64 v[136:137], v[14:15], s[16:17], v[138:139]
	v_add_f64 v[86:87], v[119:120], v[86:87]
	v_fma_f64 v[119:120], v[28:29], s[46:47], v[140:141]
	v_add_f64 v[150:151], v[1:2], v[154:155]
	v_mul_f64 v[154:155], v[34:35], s[20:21]
	v_add_f64 v[156:157], v[3:4], v[166:167]
	v_add_f64 v[7:8], v[76:77], v[7:8]
	v_fma_f64 v[76:77], v[67:68], s[30:31], v[180:181]
	v_mul_f64 v[166:167], v[24:25], s[0:1]
	v_add_f64 v[78:79], v[82:83], v[78:79]
	v_fma_f64 v[82:83], v[65:66], s[46:47], -v[117:118]
	v_add_f64 v[117:118], v[1:2], v[9:10]
	v_add_f64 v[9:10], v[94:95], v[88:89]
	v_fma_f64 v[88:89], v[67:68], s[54:55], v[123:124]
	v_fma_f64 v[123:124], v[16:17], s[38:39], -v[164:165]
	v_add_f64 v[94:95], v[3:4], v[5:6]
	v_mul_f64 v[164:165], v[24:25], s[24:25]
	v_mul_f64 v[172:173], v[63:64], s[36:37]
	v_add_f64 v[92:93], v[98:99], v[92:93]
	v_add_f64 v[96:97], v[100:101], v[96:97]
	v_fma_f64 v[98:99], v[57:58], s[0:1], -v[148:149]
	v_fma_f64 v[100:101], v[59:60], s[14:15], v[162:163]
	v_add_f64 v[69:70], v[136:137], v[69:70]
	v_fma_f64 v[136:137], v[30:31], s[44:45], v[152:153]
	v_add_f64 v[0:1], v[102:103], v[74:75]
	v_add_f64 v[74:75], v[119:120], v[86:87]
	v_fma_f64 v[119:120], v[16:17], s[58:59], v[158:159]
	v_fma_f64 v[148:149], v[18:19], s[52:53], v[160:161]
	v_mul_f64 v[162:163], v[26:27], s[40:41]
	v_add_f64 v[2:3], v[76:77], v[7:8]
	v_fma_f64 v[76:77], v[16:17], s[58:59], -v[158:159]
	v_fma_f64 v[86:87], v[36:37], s[18:19], v[154:155]
	v_add_f64 v[4:5], v[82:83], v[78:79]
	v_fma_f64 v[78:79], v[18:19], s[60:61], v[160:161]
	v_add_f64 v[82:83], v[108:109], v[104:105]
	v_add_f64 v[6:7], v[88:89], v[9:10]
	;; [unrolled: 1-line block ×3, first 2 shown]
	v_fma_f64 v[88:89], v[12:13], s[22:23], -v[125:126]
	v_fma_f64 v[90:91], v[14:15], s[34:35], v[138:139]
	v_mul_f64 v[102:103], v[32:33], s[18:19]
	v_mul_f64 v[104:105], v[51:52], s[22:23]
	;; [unrolled: 1-line block ×3, first 2 shown]
	v_add_f64 v[92:93], v[98:99], v[92:93]
	v_fma_f64 v[98:99], v[65:66], s[58:59], -v[111:112]
	v_mul_f64 v[10:11], v[42:43], s[52:53]
	v_add_f64 v[69:70], v[136:137], v[69:70]
	v_fma_f64 v[137:138], v[30:31], s[54:55], v[152:153]
	v_mul_f64 v[152:153], v[34:35], s[30:31]
	v_add_f64 v[106:107], v[119:120], v[106:107]
	v_add_f64 v[108:109], v[148:149], v[115:116]
	v_fma_f64 v[110:111], v[12:13], s[24:25], v[162:163]
	v_fma_f64 v[115:116], v[14:15], s[26:27], v[164:165]
	v_mul_f64 v[119:120], v[22:23], s[20:21]
	v_add_f64 v[76:77], v[76:77], v[127:128]
	v_fma_f64 v[125:126], v[12:13], s[24:25], -v[162:163]
	v_add_f64 v[78:79], v[78:79], v[134:135]
	v_fma_f64 v[127:128], v[14:15], s[40:41], v[164:165]
	v_add_f64 v[74:75], v[86:87], v[74:75]
	v_mul_f64 v[135:136], v[40:41], s[58:59]
	v_add_f64 v[88:89], v[88:89], v[8:9]
	v_add_f64 v[82:83], v[90:91], v[82:83]
	v_fma_f64 v[90:91], v[28:29], s[46:47], -v[140:141]
	v_fma_f64 v[86:87], v[38:39], s[36:37], v[102:103]
	v_mul_f64 v[158:159], v[32:33], s[38:39]
	v_fma_f64 v[102:103], v[38:39], s[20:21], v[102:103]
	v_add_f64 v[8:9], v[98:99], v[92:93]
	v_fma_f64 v[98:99], v[18:19], s[16:17], v[104:105]
	v_fma_f64 v[133:134], v[44:45], s[58:59], v[10:11]
	v_mul_f64 v[160:161], v[42:43], s[28:29]
	v_mul_f64 v[162:163], v[40:41], s[0:1]
	v_fma_f64 v[10:11], v[44:45], s[58:59], -v[10:11]
	v_add_f64 v[96:97], v[100:101], v[96:97]
	v_add_f64 v[106:107], v[110:111], v[106:107]
	;; [unrolled: 1-line block ×3, first 2 shown]
	v_fma_f64 v[110:111], v[28:29], s[18:19], v[119:120]
	v_fma_f64 v[115:116], v[30:31], s[36:37], v[123:124]
	v_add_f64 v[76:77], v[125:126], v[76:77]
	v_fma_f64 v[119:120], v[28:29], s[18:19], -v[119:120]
	v_add_f64 v[78:79], v[127:128], v[78:79]
	v_fma_f64 v[123:124], v[30:31], s[20:21], v[123:124]
	v_fma_f64 v[125:126], v[49:50], s[60:61], v[135:136]
	v_mul_f64 v[100:101], v[47:48], s[34:35]
	v_add_f64 v[82:83], v[137:138], v[82:83]
	v_add_f64 v[88:89], v[90:91], v[88:89]
	v_fma_f64 v[90:91], v[36:37], s[18:19], -v[154:155]
	v_add_f64 v[69:70], v[86:87], v[69:70]
	v_mul_f64 v[86:87], v[55:56], s[56:57]
	v_mul_f64 v[154:155], v[53:54], s[48:49]
	v_add_f64 v[98:99], v[98:99], v[113:114]
	v_add_f64 v[74:75], v[133:134], v[74:75]
	v_mul_f64 v[139:140], v[26:27], s[44:45]
	v_mul_f64 v[148:149], v[24:25], s[46:47]
	;; [unrolled: 1-line block ×6, first 2 shown]
	v_add_f64 v[106:107], v[110:111], v[106:107]
	v_add_f64 v[108:109], v[115:116], v[108:109]
	v_fma_f64 v[110:111], v[36:37], s[38:39], v[152:153]
	v_fma_f64 v[114:115], v[38:39], s[50:51], v[158:159]
	v_add_f64 v[76:77], v[119:120], v[76:77]
	v_add_f64 v[78:79], v[123:124], v[78:79]
	v_fma_f64 v[119:120], v[36:37], s[38:39], -v[152:153]
	v_fma_f64 v[123:124], v[38:39], s[30:31], v[158:159]
	v_add_f64 v[82:83], v[102:103], v[82:83]
	v_mul_f64 v[152:153], v[55:56], s[44:45]
	v_add_f64 v[88:89], v[90:91], v[88:89]
	v_fma_f64 v[90:91], v[49:50], s[52:53], v[135:136]
	v_fma_f64 v[137:138], v[57:58], s[48:49], v[86:87]
	v_mul_f64 v[158:159], v[53:54], s[46:47]
	v_fma_f64 v[86:87], v[57:58], s[48:49], -v[86:87]
	v_add_f64 v[69:70], v[125:126], v[69:70]
	v_fma_f64 v[92:93], v[16:17], s[22:23], v[100:101]
	v_fma_f64 v[112:113], v[12:13], s[46:47], v[139:140]
	;; [unrolled: 1-line block ×3, first 2 shown]
	v_mul_f64 v[125:126], v[63:64], s[40:41]
	v_mul_f64 v[135:136], v[32:33], s[0:1]
	v_add_f64 v[106:107], v[110:111], v[106:107]
	v_add_f64 v[108:109], v[114:115], v[108:109]
	v_fma_f64 v[110:111], v[44:45], s[0:1], v[160:161]
	v_fma_f64 v[114:115], v[49:50], s[14:15], v[162:163]
	v_add_f64 v[76:77], v[119:120], v[76:77]
	v_add_f64 v[78:79], v[123:124], v[78:79]
	v_fma_f64 v[119:120], v[44:45], s[0:1], -v[160:161]
	v_fma_f64 v[123:124], v[49:50], s[28:29], v[162:163]
	v_add_f64 v[88:89], v[10:11], v[88:89]
	v_add_f64 v[82:83], v[90:91], v[82:83]
	v_fma_f64 v[90:91], v[59:60], s[56:57], v[154:155]
	v_add_f64 v[74:75], v[137:138], v[74:75]
	v_fma_f64 v[137:138], v[59:60], s[42:43], v[154:155]
	v_mul_f64 v[162:163], v[61:62], s[24:25]
	v_add_f64 v[10:11], v[80:81], v[96:97]
	v_add_f64 v[92:93], v[92:93], v[129:130]
	v_mul_f64 v[129:130], v[22:23], s[52:53]
	v_add_f64 v[98:99], v[127:128], v[98:99]
	v_mul_f64 v[127:128], v[34:35], s[28:29]
	v_mul_f64 v[154:155], v[42:43], s[26:27]
	v_fma_f64 v[160:161], v[65:66], s[24:25], v[125:126]
	v_fma_f64 v[125:126], v[65:66], s[24:25], -v[125:126]
	v_add_f64 v[80:81], v[110:111], v[106:107]
	v_add_f64 v[96:97], v[114:115], v[108:109]
	v_fma_f64 v[106:107], v[57:58], s[46:47], v[152:153]
	v_fma_f64 v[108:109], v[59:60], s[54:55], v[158:159]
	v_mul_f64 v[110:111], v[63:64], s[42:43]
	v_mul_f64 v[114:115], v[61:62], s[48:49]
	v_add_f64 v[76:77], v[119:120], v[76:77]
	v_add_f64 v[78:79], v[123:124], v[78:79]
	v_fma_f64 v[119:120], v[57:58], s[46:47], -v[152:153]
	v_fma_f64 v[123:124], v[59:60], s[44:45], v[158:159]
	v_add_f64 v[86:87], v[86:87], v[88:89]
	v_add_f64 v[82:83], v[90:91], v[82:83]
	v_mul_f64 v[88:89], v[47:48], s[36:37]
	v_mul_f64 v[90:91], v[51:52], s[18:19]
	;; [unrolled: 1-line block ×4, first 2 shown]
	v_add_f64 v[69:70], v[137:138], v[69:70]
	v_fma_f64 v[137:138], v[67:68], s[26:27], v[162:163]
	v_fma_f64 v[152:153], v[67:68], s[40:41], v[162:163]
	v_mul_f64 v[162:163], v[26:27], s[14:15]
	v_mul_f64 v[26:27], v[26:27], s[52:53]
	v_add_f64 v[92:93], v[112:113], v[92:93]
	v_fma_f64 v[102:103], v[28:29], s[58:59], v[129:130]
	v_fma_f64 v[112:113], v[30:31], s[60:61], v[133:134]
	v_add_f64 v[80:81], v[106:107], v[80:81]
	v_add_f64 v[96:97], v[108:109], v[96:97]
	v_fma_f64 v[106:107], v[65:66], s[48:49], v[110:111]
	v_fma_f64 v[108:109], v[67:68], s[56:57], v[114:115]
	v_mul_f64 v[158:159], v[55:56], s[30:31]
	v_add_f64 v[74:75], v[160:161], v[74:75]
	v_add_f64 v[119:120], v[119:120], v[76:77]
	;; [unrolled: 1-line block ×3, first 2 shown]
	v_fma_f64 v[76:77], v[16:17], s[22:23], -v[100:101]
	v_fma_f64 v[100:101], v[18:19], s[34:35], v[104:105]
	v_fma_f64 v[104:105], v[65:66], s[48:49], -v[110:111]
	v_fma_f64 v[110:111], v[67:68], s[42:43], v[114:115]
	v_fma_f64 v[114:115], v[16:17], s[18:19], v[88:89]
	;; [unrolled: 1-line block ×3, first 2 shown]
	v_fma_f64 v[88:89], v[16:17], s[18:19], -v[88:89]
	v_fma_f64 v[90:91], v[18:19], s[36:37], v[90:91]
	v_fma_f64 v[168:169], v[16:17], s[46:47], v[47:48]
	;; [unrolled: 1-line block ×3, first 2 shown]
	v_fma_f64 v[16:17], v[16:17], s[46:47], -v[47:48]
	v_fma_f64 v[18:19], v[18:19], s[54:55], v[51:52]
	v_add_f64 v[92:93], v[102:103], v[92:93]
	v_fma_f64 v[102:103], v[36:37], s[0:1], v[127:128]
	v_add_f64 v[98:99], v[112:113], v[98:99]
	v_fma_f64 v[112:113], v[38:39], s[14:15], v[135:136]
	v_mul_f64 v[160:161], v[53:54], s[38:39]
	v_add_f64 v[47:48], v[76:77], v[121:122]
	v_add_f64 v[51:52], v[100:101], v[131:132]
	v_fma_f64 v[76:77], v[12:13], s[46:47], -v[139:140]
	v_fma_f64 v[100:101], v[14:15], s[44:45], v[148:149]
	v_add_f64 v[114:115], v[114:115], v[144:145]
	v_add_f64 v[121:122], v[123:124], v[146:147]
	v_fma_f64 v[123:124], v[12:13], s[0:1], v[162:163]
	v_fma_f64 v[131:132], v[14:15], s[28:29], v[166:167]
	v_mul_f64 v[139:140], v[22:23], s[56:57]
	v_mul_f64 v[144:145], v[20:21], s[48:49]
	v_add_f64 v[84:85], v[88:89], v[84:85]
	v_add_f64 v[88:89], v[90:91], v[142:143]
	v_fma_f64 v[90:91], v[12:13], s[0:1], -v[162:163]
	v_fma_f64 v[141:142], v[14:15], s[14:15], v[166:167]
	v_add_f64 v[146:147], v[168:169], v[150:151]
	v_fma_f64 v[150:151], v[12:13], s[58:59], v[26:27]
	v_mul_f64 v[22:23], v[22:23], s[40:41]
	v_add_f64 v[148:149], v[170:171], v[156:157]
	v_fma_f64 v[156:157], v[14:15], s[60:61], v[24:25]
	v_mul_f64 v[20:21], v[20:21], s[24:25]
	v_add_f64 v[16:17], v[16:17], v[117:118]
	v_add_f64 v[18:19], v[18:19], v[94:95]
	v_fma_f64 v[12:13], v[12:13], s[58:59], -v[26:27]
	v_fma_f64 v[14:15], v[14:15], s[52:53], v[24:25]
	v_add_f64 v[24:25], v[76:77], v[47:48]
	v_add_f64 v[26:27], v[100:101], v[51:52]
	v_fma_f64 v[47:48], v[28:29], s[58:59], -v[129:130]
	v_fma_f64 v[51:52], v[30:31], s[52:53], v[133:134]
	v_add_f64 v[76:77], v[123:124], v[114:115]
	v_add_f64 v[94:95], v[131:132], v[121:122]
	v_fma_f64 v[100:101], v[28:29], s[48:49], v[139:140]
	v_fma_f64 v[114:115], v[30:31], s[42:43], v[144:145]
	v_mul_f64 v[116:117], v[34:35], s[44:45]
	v_mul_f64 v[121:122], v[32:33], s[46:47]
	v_add_f64 v[84:85], v[90:91], v[84:85]
	v_add_f64 v[88:89], v[141:142], v[88:89]
	v_fma_f64 v[90:91], v[28:29], s[48:49], -v[139:140]
	v_fma_f64 v[123:124], v[30:31], s[56:57], v[144:145]
	v_add_f64 v[129:130], v[150:151], v[146:147]
	v_fma_f64 v[133:134], v[28:29], s[24:25], v[22:23]
	v_mul_f64 v[34:35], v[34:35], s[42:43]
	v_add_f64 v[131:132], v[156:157], v[148:149]
	v_fma_f64 v[139:140], v[30:31], s[26:27], v[20:21]
	v_mul_f64 v[32:33], v[32:33], s[48:49]
	v_add_f64 v[12:13], v[12:13], v[16:17]
	v_add_f64 v[14:15], v[14:15], v[18:19]
	v_fma_f64 v[16:17], v[28:29], s[24:25], -v[22:23]
	v_fma_f64 v[18:19], v[30:31], s[40:41], v[20:21]
	v_add_f64 v[20:21], v[47:48], v[24:25]
	v_add_f64 v[22:23], v[51:52], v[26:27]
	;; [unrolled: 1-line block ×3, first 2 shown]
	v_fma_f64 v[102:103], v[44:45], s[24:25], v[154:155]
	v_add_f64 v[28:29], v[100:101], v[76:77]
	v_add_f64 v[30:31], v[114:115], v[94:95]
	v_fma_f64 v[47:48], v[36:37], s[46:47], v[116:117]
	v_fma_f64 v[51:52], v[38:39], s[54:55], v[121:122]
	v_mul_f64 v[76:77], v[42:43], s[30:31]
	v_mul_f64 v[94:95], v[40:41], s[38:39]
	v_add_f64 v[84:85], v[90:91], v[84:85]
	v_add_f64 v[88:89], v[123:124], v[88:89]
	v_fma_f64 v[90:91], v[36:37], s[46:47], -v[116:117]
	v_fma_f64 v[100:101], v[38:39], s[44:45], v[121:122]
	v_add_f64 v[114:115], v[133:134], v[129:130]
	v_fma_f64 v[121:122], v[36:37], s[48:49], v[34:35]
	v_mul_f64 v[42:43], v[42:43], s[36:37]
	v_add_f64 v[116:117], v[139:140], v[131:132]
	v_fma_f64 v[123:124], v[38:39], s[56:57], v[32:33]
	v_mul_f64 v[40:41], v[40:41], s[18:19]
	v_fma_f64 v[24:25], v[36:37], s[0:1], -v[127:128]
	v_add_f64 v[12:13], v[16:17], v[12:13]
	v_add_f64 v[14:15], v[18:19], v[14:15]
	v_fma_f64 v[16:17], v[36:37], s[48:49], -v[34:35]
	v_fma_f64 v[18:19], v[38:39], s[42:43], v[32:33]
	v_fma_f64 v[26:27], v[38:39], s[28:29], v[135:136]
	v_add_f64 v[98:99], v[112:113], v[98:99]
	v_fma_f64 v[112:113], v[49:50], s[40:41], v[164:165]
	v_add_f64 v[28:29], v[47:48], v[28:29]
	v_add_f64 v[30:31], v[51:52], v[30:31]
	v_fma_f64 v[32:33], v[44:45], s[38:39], v[76:77]
	v_fma_f64 v[34:35], v[49:50], s[50:51], v[94:95]
	v_mul_f64 v[36:37], v[55:56], s[40:41]
	v_fma_f64 v[76:77], v[44:45], s[38:39], -v[76:77]
	v_add_f64 v[47:48], v[90:91], v[84:85]
	v_add_f64 v[51:52], v[100:101], v[88:89]
	v_fma_f64 v[84:85], v[49:50], s[30:31], v[94:95]
	v_add_f64 v[88:89], v[121:122], v[114:115]
	v_fma_f64 v[94:95], v[44:45], s[18:19], v[42:43]
	v_mul_f64 v[55:56], v[55:56], s[16:17]
	v_mul_f64 v[38:39], v[53:54], s[24:25]
	v_add_f64 v[90:91], v[123:124], v[116:117]
	v_fma_f64 v[100:101], v[49:50], s[20:21], v[40:41]
	v_mul_f64 v[53:54], v[53:54], s[22:23]
	v_add_f64 v[92:93], v[102:103], v[92:93]
	v_fma_f64 v[102:103], v[57:58], s[38:39], v[158:159]
	v_add_f64 v[20:21], v[24:25], v[20:21]
	v_fma_f64 v[24:25], v[44:45], s[24:25], -v[154:155]
	v_add_f64 v[12:13], v[16:17], v[12:13]
	v_add_f64 v[14:15], v[18:19], v[14:15]
	v_fma_f64 v[16:17], v[44:45], s[18:19], -v[42:43]
	v_fma_f64 v[18:19], v[49:50], s[36:37], v[40:41]
	v_add_f64 v[22:23], v[26:27], v[22:23]
	v_fma_f64 v[26:27], v[49:50], s[26:27], v[164:165]
	v_add_f64 v[98:99], v[112:113], v[98:99]
	;; [unrolled: 2-line block ×3, first 2 shown]
	v_fma_f64 v[32:33], v[57:58], s[24:25], v[36:37]
	v_mul_f64 v[40:41], v[63:64], s[16:17]
	v_add_f64 v[44:45], v[76:77], v[47:48]
	v_fma_f64 v[36:37], v[57:58], s[24:25], -v[36:37]
	v_add_f64 v[49:50], v[94:95], v[88:89]
	v_fma_f64 v[76:77], v[57:58], s[22:23], v[55:56]
	v_mul_f64 v[63:64], v[63:64], s[28:29]
	v_add_f64 v[30:31], v[34:35], v[30:31]
	v_fma_f64 v[34:35], v[59:60], s[26:27], v[38:39]
	v_mul_f64 v[42:43], v[61:62], s[22:23]
	v_add_f64 v[47:48], v[84:85], v[51:52]
	v_fma_f64 v[38:39], v[59:60], s[40:41], v[38:39]
	v_add_f64 v[51:52], v[100:101], v[90:91]
	v_fma_f64 v[84:85], v[59:60], s[34:35], v[53:54]
	v_mul_f64 v[61:62], v[61:62], s[0:1]
	v_add_f64 v[20:21], v[24:25], v[20:21]
	v_fma_f64 v[24:25], v[57:58], s[38:39], -v[158:159]
	v_add_f64 v[12:13], v[16:17], v[12:13]
	v_add_f64 v[14:15], v[18:19], v[14:15]
	v_fma_f64 v[16:17], v[57:58], s[22:23], -v[55:56]
	v_fma_f64 v[18:19], v[59:60], s[16:17], v[53:54]
	v_add_f64 v[53:54], v[102:103], v[92:93]
	v_fma_f64 v[57:58], v[65:66], s[18:19], v[172:173]
	v_add_f64 v[22:23], v[26:27], v[22:23]
	;; [unrolled: 2-line block ×3, first 2 shown]
	v_fma_f64 v[59:60], v[67:68], s[20:21], v[174:175]
	v_fma_f64 v[98:99], v[65:66], s[22:23], v[40:41]
	v_add_f64 v[36:37], v[36:37], v[44:45]
	v_fma_f64 v[40:41], v[65:66], s[22:23], -v[40:41]
	v_add_f64 v[44:45], v[76:77], v[49:50]
	v_fma_f64 v[49:50], v[65:66], s[0:1], v[63:64]
	v_add_f64 v[32:33], v[32:33], v[28:29]
	v_add_f64 v[34:35], v[34:35], v[30:31]
	v_fma_f64 v[100:101], v[67:68], s[34:35], v[42:43]
	v_add_f64 v[38:39], v[38:39], v[47:48]
	v_fma_f64 v[42:43], v[67:68], s[16:17], v[42:43]
	;; [unrolled: 2-line block ×3, first 2 shown]
	v_add_f64 v[88:89], v[24:25], v[20:21]
	v_fma_f64 v[63:64], v[65:66], s[0:1], -v[63:64]
	v_add_f64 v[84:85], v[16:17], v[12:13]
	v_add_f64 v[102:103], v[18:19], v[14:15]
	v_fma_f64 v[61:62], v[67:68], s[28:29], v[61:62]
	v_add_f64 v[24:25], v[57:58], v[53:54]
	v_lshlrev_b64 v[53:54], 4, v[72:73]
	v_add_nc_u32_e32 v72, s2, v72
	v_add_f64 v[76:77], v[137:138], v[69:70]
	v_add_f64 v[90:91], v[26:27], v[22:23]
	v_fma_f64 v[92:93], v[65:66], s[18:19], -v[172:173]
	v_fma_f64 v[94:95], v[67:68], s[36:37], v[174:175]
	v_add_f64 v[16:17], v[106:107], v[80:81]
	v_add_f64 v[18:19], v[108:109], v[96:97]
	;; [unrolled: 1-line block ×5, first 2 shown]
	v_lshlrev_b64 v[44:45], 4, v[72:73]
	v_add_nc_u32_e32 v72, s2, v72
	v_add_f64 v[32:33], v[98:99], v[32:33]
	v_add_f64 v[34:35], v[100:101], v[34:35]
	;; [unrolled: 1-line block ×4, first 2 shown]
	v_add_co_u32 v51, vcc_lo, v46, v53
	v_add_co_ci_u32_e32 v52, vcc_lo, v71, v54, vcc_lo
	v_lshlrev_b64 v[53:54], 4, v[72:73]
	v_add_nc_u32_e32 v72, s2, v72
	v_add_co_u32 v44, vcc_lo, v46, v44
	v_add_co_ci_u32_e32 v45, vcc_lo, v71, v45, vcc_lo
	v_lshlrev_b64 v[55:56], 4, v[72:73]
	v_add_nc_u32_e32 v72, s2, v72
	;; [unrolled: 4-line block ×3, first 2 shown]
	v_add_co_u32 v55, vcc_lo, v46, v55
	v_add_co_ci_u32_e32 v56, vcc_lo, v71, v56, vcc_lo
	v_add_f64 v[47:48], v[63:64], v[84:85]
	v_add_f64 v[49:50], v[61:62], v[102:103]
	global_store_dwordx4 v[51:52], v[74:77], off
	global_store_dwordx4 v[44:45], v[16:19], off
	;; [unrolled: 1-line block ×4, first 2 shown]
	v_lshlrev_b64 v[16:17], 4, v[72:73]
	v_add_nc_u32_e32 v72, s2, v72
	v_add_f64 v[28:29], v[92:93], v[88:89]
	v_add_f64 v[30:31], v[94:95], v[90:91]
	v_add_co_u32 v18, vcc_lo, v46, v57
	v_lshlrev_b64 v[24:25], 4, v[72:73]
	v_add_nc_u32_e32 v72, s2, v72
	v_add_co_ci_u32_e32 v19, vcc_lo, v71, v58, vcc_lo
	v_add_co_u32 v16, vcc_lo, v46, v16
	v_lshlrev_b64 v[26:27], 4, v[72:73]
	v_add_nc_u32_e32 v72, s2, v72
	v_add_co_ci_u32_e32 v17, vcc_lo, v71, v17, vcc_lo
	v_add_co_u32 v24, vcc_lo, v46, v24
	v_add_co_ci_u32_e32 v25, vcc_lo, v71, v25, vcc_lo
	v_lshlrev_b64 v[32:33], 4, v[72:73]
	v_add_nc_u32_e32 v72, s2, v72
	v_add_co_u32 v26, vcc_lo, v46, v26
	v_add_co_ci_u32_e32 v27, vcc_lo, v71, v27, vcc_lo
	global_store_dwordx4 v[18:19], v[40:43], off
	global_store_dwordx4 v[16:17], v[47:50], off
	;; [unrolled: 1-line block ×4, first 2 shown]
	v_lshlrev_b64 v[16:17], 4, v[72:73]
	v_add_nc_u32_e32 v72, s2, v72
	v_add_f64 v[20:21], v[104:105], v[119:120]
	v_add_f64 v[22:23], v[110:111], v[78:79]
	;; [unrolled: 1-line block ×4, first 2 shown]
	v_lshlrev_b64 v[24:25], 4, v[72:73]
	v_add_nc_u32_e32 v72, s2, v72
	v_add_co_u32 v18, vcc_lo, v46, v32
	v_add_co_ci_u32_e32 v19, vcc_lo, v71, v33, vcc_lo
	v_lshlrev_b64 v[26:27], 4, v[72:73]
	v_add_nc_u32_e32 v72, s2, v72
	v_add_co_u32 v16, vcc_lo, v46, v16
	v_add_co_ci_u32_e32 v17, vcc_lo, v71, v17, vcc_lo
	v_add_co_u32 v24, vcc_lo, v46, v24
	v_lshlrev_b64 v[28:29], 4, v[72:73]
	v_add_co_ci_u32_e32 v25, vcc_lo, v71, v25, vcc_lo
	v_add_co_u32 v26, vcc_lo, v46, v26
	v_add_co_ci_u32_e32 v27, vcc_lo, v71, v27, vcc_lo
	v_add_co_u32 v28, vcc_lo, v46, v28
	v_add_co_ci_u32_e32 v29, vcc_lo, v71, v29, vcc_lo
	global_store_dwordx4 v[18:19], v[20:23], off
	global_store_dwordx4 v[16:17], v[12:15], off
	;; [unrolled: 1-line block ×5, first 2 shown]
	s_endpgm
	.section	.rodata,"a",@progbits
	.p2align	6, 0x0
	.amdhsa_kernel fft_rtc_back_len289_factors_17_17_wgs_119_tpt_17_dp_op_CI_CI_sbrc_xy_z_diag_dirReg
		.amdhsa_group_segment_fixed_size 0
		.amdhsa_private_segment_fixed_size 0
		.amdhsa_kernarg_size 104
		.amdhsa_user_sgpr_count 6
		.amdhsa_user_sgpr_private_segment_buffer 1
		.amdhsa_user_sgpr_dispatch_ptr 0
		.amdhsa_user_sgpr_queue_ptr 0
		.amdhsa_user_sgpr_kernarg_segment_ptr 1
		.amdhsa_user_sgpr_dispatch_id 0
		.amdhsa_user_sgpr_flat_scratch_init 0
		.amdhsa_user_sgpr_private_segment_size 0
		.amdhsa_wavefront_size32 1
		.amdhsa_uses_dynamic_stack 0
		.amdhsa_system_sgpr_private_segment_wavefront_offset 0
		.amdhsa_system_sgpr_workgroup_id_x 1
		.amdhsa_system_sgpr_workgroup_id_y 0
		.amdhsa_system_sgpr_workgroup_id_z 0
		.amdhsa_system_sgpr_workgroup_info 0
		.amdhsa_system_vgpr_workitem_id 0
		.amdhsa_next_free_vgpr 212
		.amdhsa_next_free_sgpr 64
		.amdhsa_reserve_vcc 1
		.amdhsa_reserve_flat_scratch 0
		.amdhsa_float_round_mode_32 0
		.amdhsa_float_round_mode_16_64 0
		.amdhsa_float_denorm_mode_32 3
		.amdhsa_float_denorm_mode_16_64 3
		.amdhsa_dx10_clamp 1
		.amdhsa_ieee_mode 1
		.amdhsa_fp16_overflow 0
		.amdhsa_workgroup_processor_mode 1
		.amdhsa_memory_ordered 1
		.amdhsa_forward_progress 0
		.amdhsa_shared_vgpr_count 0
		.amdhsa_exception_fp_ieee_invalid_op 0
		.amdhsa_exception_fp_denorm_src 0
		.amdhsa_exception_fp_ieee_div_zero 0
		.amdhsa_exception_fp_ieee_overflow 0
		.amdhsa_exception_fp_ieee_underflow 0
		.amdhsa_exception_fp_ieee_inexact 0
		.amdhsa_exception_int_div_zero 0
	.end_amdhsa_kernel
	.text
.Lfunc_end0:
	.size	fft_rtc_back_len289_factors_17_17_wgs_119_tpt_17_dp_op_CI_CI_sbrc_xy_z_diag_dirReg, .Lfunc_end0-fft_rtc_back_len289_factors_17_17_wgs_119_tpt_17_dp_op_CI_CI_sbrc_xy_z_diag_dirReg
                                        ; -- End function
	.section	.AMDGPU.csdata,"",@progbits
; Kernel info:
; codeLenInByte = 16692
; NumSgprs: 66
; NumVgprs: 212
; ScratchSize: 0
; MemoryBound: 0
; FloatMode: 240
; IeeeMode: 1
; LDSByteSize: 0 bytes/workgroup (compile time only)
; SGPRBlocks: 8
; VGPRBlocks: 26
; NumSGPRsForWavesPerEU: 66
; NumVGPRsForWavesPerEU: 212
; Occupancy: 4
; WaveLimiterHint : 1
; COMPUTE_PGM_RSRC2:SCRATCH_EN: 0
; COMPUTE_PGM_RSRC2:USER_SGPR: 6
; COMPUTE_PGM_RSRC2:TRAP_HANDLER: 0
; COMPUTE_PGM_RSRC2:TGID_X_EN: 1
; COMPUTE_PGM_RSRC2:TGID_Y_EN: 0
; COMPUTE_PGM_RSRC2:TGID_Z_EN: 0
; COMPUTE_PGM_RSRC2:TIDIG_COMP_CNT: 0
	.text
	.p2alignl 6, 3214868480
	.fill 48, 4, 3214868480
	.type	__hip_cuid_cfc3a4465257fa09,@object ; @__hip_cuid_cfc3a4465257fa09
	.section	.bss,"aw",@nobits
	.globl	__hip_cuid_cfc3a4465257fa09
__hip_cuid_cfc3a4465257fa09:
	.byte	0                               ; 0x0
	.size	__hip_cuid_cfc3a4465257fa09, 1

	.ident	"AMD clang version 19.0.0git (https://github.com/RadeonOpenCompute/llvm-project roc-6.4.0 25133 c7fe45cf4b819c5991fe208aaa96edf142730f1d)"
	.section	".note.GNU-stack","",@progbits
	.addrsig
	.addrsig_sym __hip_cuid_cfc3a4465257fa09
	.amdgpu_metadata
---
amdhsa.kernels:
  - .args:
      - .actual_access:  read_only
        .address_space:  global
        .offset:         0
        .size:           8
        .value_kind:     global_buffer
      - .offset:         8
        .size:           8
        .value_kind:     by_value
      - .actual_access:  read_only
        .address_space:  global
        .offset:         16
        .size:           8
        .value_kind:     global_buffer
      - .actual_access:  read_only
        .address_space:  global
        .offset:         24
        .size:           8
        .value_kind:     global_buffer
      - .actual_access:  read_only
        .address_space:  global
        .offset:         32
        .size:           8
        .value_kind:     global_buffer
      - .offset:         40
        .size:           8
        .value_kind:     by_value
      - .actual_access:  read_only
        .address_space:  global
        .offset:         48
        .size:           8
        .value_kind:     global_buffer
      - .actual_access:  read_only
        .address_space:  global
        .offset:         56
        .size:           8
        .value_kind:     global_buffer
      - .offset:         64
        .size:           4
        .value_kind:     by_value
      - .actual_access:  read_only
        .address_space:  global
        .offset:         72
        .size:           8
        .value_kind:     global_buffer
      - .actual_access:  read_only
        .address_space:  global
        .offset:         80
        .size:           8
        .value_kind:     global_buffer
      - .actual_access:  read_only
        .address_space:  global
        .offset:         88
        .size:           8
        .value_kind:     global_buffer
      - .actual_access:  write_only
        .address_space:  global
        .offset:         96
        .size:           8
        .value_kind:     global_buffer
    .group_segment_fixed_size: 0
    .kernarg_segment_align: 8
    .kernarg_segment_size: 104
    .language:       OpenCL C
    .language_version:
      - 2
      - 0
    .max_flat_workgroup_size: 119
    .name:           fft_rtc_back_len289_factors_17_17_wgs_119_tpt_17_dp_op_CI_CI_sbrc_xy_z_diag_dirReg
    .private_segment_fixed_size: 0
    .sgpr_count:     66
    .sgpr_spill_count: 0
    .symbol:         fft_rtc_back_len289_factors_17_17_wgs_119_tpt_17_dp_op_CI_CI_sbrc_xy_z_diag_dirReg.kd
    .uniform_work_group_size: 1
    .uses_dynamic_stack: false
    .vgpr_count:     212
    .vgpr_spill_count: 0
    .wavefront_size: 32
    .workgroup_processor_mode: 1
amdhsa.target:   amdgcn-amd-amdhsa--gfx1030
amdhsa.version:
  - 1
  - 2
...

	.end_amdgpu_metadata
